;; amdgpu-corpus repo=ROCm/rocFFT kind=compiled arch=gfx1030 opt=O3
	.text
	.amdgcn_target "amdgcn-amd-amdhsa--gfx1030"
	.amdhsa_code_object_version 6
	.protected	bluestein_single_back_len195_dim1_sp_op_CI_CI ; -- Begin function bluestein_single_back_len195_dim1_sp_op_CI_CI
	.globl	bluestein_single_back_len195_dim1_sp_op_CI_CI
	.p2align	8
	.type	bluestein_single_back_len195_dim1_sp_op_CI_CI,@function
bluestein_single_back_len195_dim1_sp_op_CI_CI: ; @bluestein_single_back_len195_dim1_sp_op_CI_CI
; %bb.0:
	s_load_dwordx4 s[8:11], s[4:5], 0x28
	v_mul_u32_u24_e32 v1, 0x13b2, v0
	v_mov_b32_e32 v99, 0
	s_mov_b32 s0, exec_lo
	v_lshrrev_b32_e32 v4, 16, v1
	v_lshl_add_u32 v98, s6, 2, v4
	s_waitcnt lgkmcnt(0)
	v_cmpx_gt_u64_e64 s[8:9], v[98:99]
	s_cbranch_execz .LBB0_15
; %bb.1:
	s_clause 0x1
	s_load_dwordx4 s[0:3], s[4:5], 0x18
	s_load_dwordx2 s[16:17], s[4:5], 0x0
	v_mul_lo_u16 v1, v4, 13
	v_sub_nc_u16 v31, v0, v1
	v_and_b32_e32 v124, 0xffff, v31
	v_lshlrev_b32_e32 v62, 3, v124
	v_or_b32_e32 v123, 28, v124
	v_or_b32_e32 v122, 58, v124
	s_waitcnt lgkmcnt(0)
	s_load_dwordx4 s[12:15], s[0:1], 0x0
	s_clause 0x7
	global_load_dwordx2 v[111:112], v62, s[16:17]
	global_load_dwordx2 v[107:108], v62, s[16:17] offset:120
	global_load_dwordx2 v[109:110], v62, s[16:17] offset:240
	;; [unrolled: 1-line block ×7, first 2 shown]
	v_or_b32_e32 v121, 0x58, v124
	v_or_b32_e32 v119, 0x76, v124
	;; [unrolled: 1-line block ×4, first 2 shown]
	s_waitcnt lgkmcnt(0)
	v_mad_u64_u32 v[0:1], null, s14, v98, 0
	v_mad_u64_u32 v[2:3], null, s12, v124, 0
	s_mul_i32 s0, s13, 0x78
	s_mul_hi_u32 s1, s12, 0x78
	s_mul_i32 s6, s12, 0x78
	s_add_i32 s1, s1, s0
	v_add_co_u32 v84, s0, s16, v62
	v_mad_u64_u32 v[5:6], null, s15, v98, v[1:2]
	v_mad_u64_u32 v[6:7], null, s13, v124, v[3:4]
	v_and_b32_e32 v4, 3, v4
	v_add_co_ci_u32_e64 v85, null, s17, 0, s0
	v_mov_b32_e32 v1, v5
	v_mul_u32_u24_e32 v4, 0xc3, v4
	v_mov_b32_e32 v3, v6
	v_lshlrev_b64 v[0:1], 3, v[0:1]
	v_lshlrev_b32_e32 v125, 3, v4
	v_lshlrev_b64 v[5:6], 3, v[2:3]
	v_add_nc_u32_e32 v117, v125, v62
	v_add_co_u32 v2, vcc_lo, s10, v0
	v_add_co_ci_u32_e32 v3, vcc_lo, s11, v1, vcc_lo
	v_add_co_u32 v0, vcc_lo, v2, v5
	v_add_co_ci_u32_e32 v1, vcc_lo, v3, v6, vcc_lo
	;; [unrolled: 2-line block ×4, first 2 shown]
	s_clause 0x1
	global_load_dwordx2 v[9:10], v[0:1], off
	global_load_dwordx2 v[5:6], v[5:6], off
	v_add_co_u32 v0, vcc_lo, v7, s6
	v_add_co_ci_u32_e32 v1, vcc_lo, s1, v8, vcc_lo
	s_clause 0x2
	global_load_dwordx2 v[86:87], v62, s[16:17] offset:960
	global_load_dwordx2 v[90:91], v62, s[16:17] offset:1080
	;; [unrolled: 1-line block ×3, first 2 shown]
	v_add_co_u32 v11, vcc_lo, v0, s6
	v_add_co_ci_u32_e32 v12, vcc_lo, s1, v1, vcc_lo
	s_clause 0x1
	global_load_dwordx2 v[7:8], v[7:8], off
	global_load_dwordx2 v[13:14], v[0:1], off
	v_add_co_u32 v0, vcc_lo, v11, s6
	v_add_co_ci_u32_e32 v1, vcc_lo, s1, v12, vcc_lo
	global_load_dwordx2 v[11:12], v[11:12], off
	v_add_co_u32 v15, vcc_lo, v0, s6
	v_add_co_ci_u32_e32 v16, vcc_lo, s1, v1, vcc_lo
	;; [unrolled: 3-line block ×8, first 2 shown]
	global_load_dwordx2 v[94:95], v62, s[16:17] offset:1320
	global_load_dwordx2 v[27:28], v[27:28], off
	global_load_dwordx2 v[96:97], v62, s[16:17] offset:1440
	global_load_dwordx2 v[29:30], v[0:1], off
	v_cmp_gt_u16_e32 vcc_lo, 2, v31
	s_load_dwordx2 s[6:7], s[4:5], 0x38
	s_load_dwordx4 s[8:11], s[2:3], 0x0
	s_waitcnt vmcnt(17)
	v_mul_f32_e32 v31, v10, v112
	v_mul_f32_e32 v32, v9, v112
	s_waitcnt vmcnt(16)
	v_mul_f32_e32 v4, v6, v108
	v_mul_f32_e32 v33, v5, v108
	v_fmac_f32_e32 v31, v9, v111
	v_fma_f32 v32, v10, v111, -v32
	v_fmac_f32_e32 v4, v5, v107
	v_fma_f32 v5, v6, v107, -v33
	s_waitcnt vmcnt(12)
	v_mul_f32_e32 v6, v8, v110
	v_mul_f32_e32 v10, v7, v110
	s_waitcnt vmcnt(11)
	v_mul_f32_e32 v9, v14, v104
	ds_write2_b64 v117, v[31:32], v[4:5] offset1:15
	v_mul_f32_e32 v5, v13, v104
	v_fmac_f32_e32 v6, v7, v109
	v_fma_f32 v7, v8, v109, -v10
	v_fmac_f32_e32 v9, v13, v103
	s_waitcnt vmcnt(10)
	v_mul_f32_e32 v4, v12, v106
	v_mul_f32_e32 v8, v11, v106
	v_fma_f32 v10, v14, v103, -v5
	s_waitcnt vmcnt(9)
	v_mul_f32_e32 v13, v18, v100
	v_mul_f32_e32 v31, v17, v100
	v_fmac_f32_e32 v4, v11, v105
	v_fma_f32 v5, v12, v105, -v8
	ds_write2_b64 v117, v[6:7], v[9:10] offset0:30 offset1:45
	v_fmac_f32_e32 v13, v17, v99
	v_fma_f32 v14, v18, v99, -v31
	s_waitcnt vmcnt(8)
	v_mul_f32_e32 v6, v16, v102
	v_mul_f32_e32 v7, v15, v102
	s_waitcnt vmcnt(7)
	v_mul_f32_e32 v8, v22, v93
	ds_write2_b64 v117, v[4:5], v[13:14] offset0:60 offset1:75
	v_mul_f32_e32 v5, v21, v93
	v_fmac_f32_e32 v6, v15, v101
	v_fma_f32 v7, v16, v101, -v7
	s_waitcnt vmcnt(6)
	v_mul_f32_e32 v4, v20, v87
	v_fmac_f32_e32 v8, v21, v92
	v_fma_f32 v9, v22, v92, -v5
	v_mul_f32_e32 v5, v19, v87
	s_waitcnt vmcnt(5)
	v_mul_f32_e32 v10, v26, v91
	v_mul_f32_e32 v11, v25, v91
	v_fmac_f32_e32 v4, v19, v86
	v_fma_f32 v5, v20, v86, -v5
	s_waitcnt vmcnt(4)
	v_mul_f32_e32 v12, v24, v89
	v_mul_f32_e32 v13, v23, v89
	v_fmac_f32_e32 v10, v25, v90
	s_waitcnt vmcnt(2)
	v_mul_f32_e32 v14, v28, v95
	v_mul_f32_e32 v15, v27, v95
	s_waitcnt vmcnt(0)
	v_mul_f32_e32 v16, v30, v97
	v_mul_f32_e32 v17, v29, v97
	v_fma_f32 v11, v26, v90, -v11
	v_fmac_f32_e32 v12, v23, v88
	v_fma_f32 v13, v24, v88, -v13
	v_fmac_f32_e32 v14, v27, v94
	;; [unrolled: 2-line block ×3, first 2 shown]
	v_fma_f32 v17, v30, v96, -v17
	ds_write2_b64 v117, v[6:7], v[8:9] offset0:90 offset1:105
	ds_write2_b64 v117, v[4:5], v[10:11] offset0:120 offset1:135
	;; [unrolled: 1-line block ×3, first 2 shown]
	ds_write_b64 v117, v[16:17] offset:1440
	s_and_saveexec_b32 s1, vcc_lo
	s_cbranch_execz .LBB0_3
; %bb.2:
	v_mad_u64_u32 v[4:5], null, s12, v123, 0
	v_mad_u64_u32 v[6:7], null, s12, v122, 0
	;; [unrolled: 1-line block ×3, first 2 shown]
	s_mul_i32 s0, s13, 0xfffffac8
	s_mul_i32 s3, s13, 0xf0
	s_sub_i32 s0, s0, s12
	s_mul_hi_u32 s14, s12, 0xf0
	v_mad_u64_u32 v[8:9], null, s13, v123, v[5:6]
	v_mad_u64_u32 v[9:10], null, s12, v121, 0
	v_add_nc_u32_e32 v1, s0, v1
	s_mul_i32 s2, s12, 0xf0
	s_add_i32 s14, s14, s3
	v_add_co_u32 v11, s0, v0, s2
	v_mov_b32_e32 v5, v8
	v_mad_u64_u32 v[7:8], null, s13, v122, v[7:8]
	v_mov_b32_e32 v8, v10
	v_add_co_ci_u32_e64 v12, s0, s14, v1, s0
	v_lshlrev_b64 v[4:5], 3, v[4:5]
	v_mad_u64_u32 v[31:32], null, s12, v118, 0
	v_mad_u64_u32 v[13:14], null, s13, v121, v[8:9]
	;; [unrolled: 1-line block ×3, first 2 shown]
	v_lshlrev_b64 v[6:7], 3, v[6:7]
	v_add_co_u32 v4, s0, v2, v4
	v_add_co_ci_u32_e64 v5, s0, v3, v5, s0
	v_mov_b32_e32 v10, v13
	v_mov_b32_e32 v8, v15
	v_add_co_u32 v6, s0, v2, v6
	v_add_co_ci_u32_e64 v7, s0, v3, v7, s0
	v_lshlrev_b64 v[9:10], 3, v[9:10]
	global_load_dwordx2 v[0:1], v[0:1], off
	global_load_dwordx2 v[4:5], v[4:5], off
	;; [unrolled: 1-line block ×4, first 2 shown]
	v_add_co_u32 v11, s0, v11, s2
	v_add_co_ci_u32_e64 v12, s0, s14, v12, s0
	v_mad_u64_u32 v[18:19], null, s13, v119, v[8:9]
	v_mad_u64_u32 v[19:20], null, s12, v120, 0
	v_add_co_u32 v8, s0, v2, v9
	v_add_co_ci_u32_e64 v9, s0, v3, v10, s0
	s_clause 0x3
	global_load_dwordx2 v[21:22], v[84:85], off offset:104
	global_load_dwordx2 v[23:24], v[84:85], off offset:224
	;; [unrolled: 1-line block ×4, first 2 shown]
	global_load_dwordx2 v[29:30], v[11:12], off
	v_add_co_u32 v11, s0, v11, s2
	v_mov_b32_e32 v10, v20
	v_mov_b32_e32 v15, v18
	v_add_co_ci_u32_e64 v12, s0, s14, v12, s0
	v_mad_u64_u32 v[33:34], null, s13, v120, v[10:11]
	v_mov_b32_e32 v10, v32
	v_lshlrev_b64 v[13:14], 3, v[14:15]
	global_load_dwordx2 v[8:9], v[8:9], off
	global_load_dwordx2 v[34:35], v[11:12], off
	v_mov_b32_e32 v20, v33
	v_mad_u64_u32 v[32:33], null, s13, v118, v[10:11]
	v_add_co_u32 v13, s0, v2, v13
	v_lshlrev_b64 v[18:19], 3, v[19:20]
	v_add_co_ci_u32_e64 v14, s0, v3, v14, s0
	v_add_co_u32 v10, s0, v11, s2
	v_lshlrev_b64 v[31:32], 3, v[31:32]
	v_add_co_ci_u32_e64 v11, s0, s14, v12, s0
	v_add_co_u32 v18, s0, v2, v18
	v_add_co_ci_u32_e64 v19, s0, v3, v19, s0
	v_add_co_u32 v2, s0, v2, v31
	v_add_co_ci_u32_e64 v3, s0, v3, v32, s0
	s_clause 0x2
	global_load_dwordx2 v[36:37], v[84:85], off offset:584
	global_load_dwordx2 v[38:39], v[84:85], off offset:704
	;; [unrolled: 1-line block ×3, first 2 shown]
	global_load_dwordx2 v[13:14], v[13:14], off
	global_load_dwordx2 v[42:43], v[84:85], off offset:944
	global_load_dwordx2 v[44:45], v[10:11], off
	global_load_dwordx2 v[46:47], v[84:85], off offset:1064
	;; [unrolled: 2-line block ×3, first 2 shown]
	v_add_co_u32 v10, s0, v10, s2
	v_add_co_ci_u32_e64 v11, s0, s14, v11, s0
	global_load_dwordx2 v[2:3], v[2:3], off
	s_clause 0x1
	global_load_dwordx2 v[31:32], v[84:85], off offset:1424
	global_load_dwordx2 v[50:51], v[84:85], off offset:1304
	global_load_dwordx2 v[52:53], v[10:11], off
	v_add_co_u32 v10, s0, v10, s2
	v_add_co_ci_u32_e64 v11, s0, s14, v11, s0
	global_load_dwordx2 v[54:55], v[84:85], off offset:1544
	global_load_dwordx2 v[10:11], v[10:11], off
	s_waitcnt vmcnt(21)
	v_mul_f32_e32 v20, v1, v22
	v_mul_f32_e32 v12, v0, v22
	s_waitcnt vmcnt(19)
	v_mul_f32_e32 v15, v17, v26
	v_fmac_f32_e32 v20, v0, v21
	v_fma_f32 v21, v1, v21, -v12
	v_mul_f32_e32 v1, v16, v26
	v_fmac_f32_e32 v15, v16, v25
	v_fma_f32 v16, v17, v25, -v1
	s_waitcnt vmcnt(14)
	v_mul_f32_e32 v0, v30, v37
	v_mul_f32_e32 v12, v29, v37
	s_waitcnt vmcnt(12)
	v_mul_f32_e32 v33, v35, v41
	v_mul_f32_e32 v22, v34, v41
	s_waitcnt vmcnt(8)
	v_mul_f32_e32 v25, v45, v47
	v_fmac_f32_e32 v0, v29, v36
	v_fma_f32 v1, v30, v36, -v12
	v_fmac_f32_e32 v33, v34, v40
	v_fma_f32 v34, v35, v40, -v22
	v_mul_f32_e32 v35, v9, v39
	v_mul_f32_e32 v36, v8, v39
	s_waitcnt vmcnt(4)
	v_mul_f32_e32 v37, v3, v32
	v_mul_f32_e32 v32, v2, v32
	;; [unrolled: 1-line block ×11, first 2 shown]
	s_waitcnt vmcnt(2)
	v_mul_f32_e32 v39, v53, v51
	v_mul_f32_e32 v43, v52, v51
	v_fmac_f32_e32 v35, v8, v38
	v_fma_f32 v36, v9, v38, -v36
	v_fmac_f32_e32 v37, v2, v31
	v_fma_f32 v38, v3, v31, -v32
	s_waitcnt vmcnt(0)
	v_mul_f32_e32 v2, v11, v55
	v_mul_f32_e32 v3, v10, v55
	v_fmac_f32_e32 v22, v4, v23
	v_fma_f32 v23, v5, v23, -v24
	v_fmac_f32_e32 v29, v6, v27
	v_fma_f32 v30, v7, v27, -v28
	;; [unrolled: 2-line block ×7, first 2 shown]
	ds_write2_b64 v117, v[20:21], v[22:23] offset0:13 offset1:28
	ds_write2_b64 v117, v[15:16], v[29:30] offset0:43 offset1:58
	;; [unrolled: 1-line block ×6, first 2 shown]
	ds_write_b64 v117, v[2:3] offset:1544
.LBB0_3:
	s_or_b32 exec_lo, exec_lo, s1
	s_waitcnt lgkmcnt(0)
	s_barrier
	buffer_gl0_inv
	ds_read2_b64 v[44:47], v117 offset1:15
	ds_read2_b64 v[28:31], v117 offset0:30 offset1:45
	ds_read2_b64 v[4:7], v117 offset0:60 offset1:75
	;; [unrolled: 1-line block ×5, first 2 shown]
	ds_read_b64 v[50:51], v117 offset:1440
	s_load_dwordx2 s[2:3], s[4:5], 0x8
	v_mov_b32_e32 v8, 0
	v_mov_b32_e32 v9, 0
                                        ; implicit-def: $vgpr18
                                        ; implicit-def: $vgpr12
                                        ; implicit-def: $vgpr24
                                        ; implicit-def: $vgpr48
                                        ; implicit-def: $vgpr34
                                        ; implicit-def: $vgpr38
	s_and_saveexec_b32 s0, vcc_lo
	s_cbranch_execz .LBB0_5
; %bb.4:
	ds_read2_b64 v[8:11], v117 offset0:13 offset1:28
	ds_read2_b64 v[36:39], v117 offset0:43 offset1:58
	;; [unrolled: 1-line block ×6, first 2 shown]
	ds_read_b64 v[48:49], v117 offset:1544
.LBB0_5:
	s_or_b32 exec_lo, exec_lo, s0
	s_waitcnt lgkmcnt(0)
	v_add_f32_e32 v52, v44, v46
	v_add_f32_e32 v53, v45, v47
	v_sub_f32_e32 v55, v47, v51
	v_add_f32_e32 v57, v51, v47
	v_add_f32_e32 v54, v50, v46
	;; [unrolled: 1-line block ×4, first 2 shown]
	v_sub_f32_e32 v56, v46, v50
	v_mul_f32_e32 v46, 0xbeedf032, v55
	v_mul_f32_e32 v58, 0xbf52af12, v55
	v_add_f32_e32 v47, v52, v30
	v_add_f32_e32 v52, v53, v31
	v_mul_f32_e32 v53, 0xbeedf032, v56
	v_fma_f32 v64, 0x3f62ad3f, v54, -v46
	v_fmac_f32_e32 v46, 0x3f62ad3f, v54
	v_add_f32_e32 v47, v47, v4
	v_add_f32_e32 v52, v52, v5
	v_mul_f32_e32 v59, 0xbf52af12, v56
	v_mul_f32_e32 v60, 0xbf7e222b, v55
	v_mul_f32_e32 v61, 0xbf7e222b, v56
	v_add_f32_e32 v47, v47, v6
	v_add_f32_e32 v52, v52, v7
	v_add_f32_e32 v70, v44, v46
	v_fmamk_f32 v65, v57, 0x3f62ad3f, v53
	v_fma_f32 v53, 0x3f62ad3f, v57, -v53
	v_add_f32_e32 v47, v47, v0
	v_add_f32_e32 v52, v52, v1
	v_fma_f32 v66, 0x3f116cb1, v54, -v58
	v_fmamk_f32 v67, v57, 0x3f116cb1, v59
	v_fma_f32 v68, 0x3df6dbef, v54, -v60
	v_add_f32_e32 v47, v47, v2
	v_add_f32_e32 v52, v52, v3
	v_fmamk_f32 v69, v57, 0x3df6dbef, v61
	v_sub_f32_e32 v76, v29, v43
	v_mul_f32_e32 v63, 0xbf6f5d39, v55
	v_add_f32_e32 v47, v47, v20
	v_add_f32_e32 v52, v52, v21
	v_mul_f32_e32 v72, 0xbf29c268, v56
	v_add_f32_e32 v78, v42, v28
	v_mul_f32_e32 v79, 0xbf52af12, v76
	v_add_f32_e32 v47, v47, v22
	v_add_f32_e32 v52, v52, v23
	v_fmac_f32_e32 v58, 0x3f116cb1, v54
	v_fma_f32 v59, 0x3f116cb1, v57, -v59
	v_fmac_f32_e32 v60, 0x3df6dbef, v54
	v_add_f32_e32 v46, v47, v40
	v_add_f32_e32 v47, v52, v41
	v_add_f32_e32 v52, v45, v53
	v_add_f32_e32 v53, v44, v66
	v_add_f32_e32 v66, v45, v67
	v_add_f32_e32 v46, v46, v42
	v_add_f32_e32 v47, v47, v43
	v_add_f32_e32 v67, v44, v68
	v_mul_f32_e32 v68, 0xbf6f5d39, v56
	v_mul_f32_e32 v56, 0xbe750f2a, v56
	v_fma_f32 v61, 0x3df6dbef, v57, -v61
	v_add_f32_e32 v47, v47, v51
	v_add_f32_e32 v51, v45, v69
	v_mul_f32_e32 v69, 0xbf29c268, v55
	v_mul_f32_e32 v55, 0xbe750f2a, v55
	v_add_f32_e32 v64, v44, v64
	v_add_f32_e32 v46, v46, v50
	v_fma_f32 v50, 0xbeb58ec6, v54, -v63
	v_fmamk_f32 v71, v57, 0xbeb58ec6, v68
	v_fmac_f32_e32 v63, 0xbeb58ec6, v54
	v_fma_f32 v68, 0xbeb58ec6, v57, -v68
	v_fma_f32 v73, 0xbf3f9e67, v54, -v69
	v_fmamk_f32 v74, v57, 0xbf3f9e67, v72
	v_fmac_f32_e32 v69, 0xbf3f9e67, v54
	v_fma_f32 v72, 0xbf3f9e67, v57, -v72
	v_fma_f32 v75, 0xbf788fa5, v54, -v55
	v_fmamk_f32 v77, v57, 0xbf788fa5, v56
	v_sub_f32_e32 v28, v28, v42
	v_fmac_f32_e32 v55, 0xbf788fa5, v54
	v_fma_f32 v42, 0xbf788fa5, v57, -v56
	v_fma_f32 v54, 0x3f116cb1, v78, -v79
	v_add_f32_e32 v65, v45, v65
	v_add_f32_e32 v59, v45, v59
	;; [unrolled: 1-line block ×9, first 2 shown]
	v_mul_f32_e32 v43, 0xbf52af12, v28
	v_add_f32_e32 v42, v45, v42
	v_add_f32_e32 v45, v54, v64
	v_mul_f32_e32 v54, 0xbf6f5d39, v76
	v_add_f32_e32 v58, v44, v58
	v_add_f32_e32 v60, v44, v60
	;; [unrolled: 1-line block ×8, first 2 shown]
	v_fmamk_f32 v55, v29, 0x3f116cb1, v43
	v_fma_f32 v43, 0x3f116cb1, v29, -v43
	v_mul_f32_e32 v56, 0xbf6f5d39, v28
	v_fma_f32 v57, 0xbeb58ec6, v78, -v54
	v_fmac_f32_e32 v54, 0xbeb58ec6, v78
	v_add_f32_e32 v55, v55, v65
	v_add_f32_e32 v43, v43, v52
	v_fmamk_f32 v52, v29, 0xbeb58ec6, v56
	v_add_f32_e32 v53, v57, v53
	v_mul_f32_e32 v57, 0xbe750f2a, v76
	v_fma_f32 v56, 0xbeb58ec6, v29, -v56
	v_mul_f32_e32 v65, 0xbe750f2a, v28
	v_add_f32_e32 v52, v52, v66
	v_add_f32_e32 v54, v54, v58
	v_fma_f32 v66, 0xbf788fa5, v78, -v57
	v_add_f32_e32 v56, v56, v59
	v_mul_f32_e32 v58, 0x3f29c268, v76
	v_fmamk_f32 v59, v29, 0xbf788fa5, v65
	v_fmac_f32_e32 v57, 0xbf788fa5, v78
	v_fma_f32 v65, 0xbf788fa5, v29, -v65
	v_fmac_f32_e32 v79, 0x3f116cb1, v78
	v_add_f32_e32 v66, v66, v67
	v_fma_f32 v67, 0xbf3f9e67, v78, -v58
	v_add_f32_e32 v57, v57, v60
	v_add_f32_e32 v60, v65, v61
	v_mul_f32_e32 v61, 0x3f7e222b, v76
	v_add_f32_e32 v64, v79, v70
	v_add_f32_e32 v51, v59, v51
	v_mul_f32_e32 v59, 0x3f29c268, v28
	v_add_f32_e32 v50, v67, v50
	v_fmac_f32_e32 v58, 0xbf3f9e67, v78
	v_mul_f32_e32 v67, 0x3f7e222b, v28
	v_fma_f32 v70, 0x3df6dbef, v78, -v61
	v_fmac_f32_e32 v61, 0x3df6dbef, v78
	v_fmamk_f32 v65, v29, 0xbf3f9e67, v59
	v_fma_f32 v59, 0xbf3f9e67, v29, -v59
	v_add_f32_e32 v58, v58, v63
	v_fmamk_f32 v63, v29, 0x3df6dbef, v67
	v_fma_f32 v67, 0x3df6dbef, v29, -v67
	v_add_f32_e32 v61, v61, v69
	v_sub_f32_e32 v69, v31, v41
	v_add_f32_e32 v59, v59, v68
	v_add_f32_e32 v68, v70, v73
	v_mul_f32_e32 v70, 0x3eedf032, v76
	v_add_f32_e32 v63, v63, v74
	v_mul_f32_e32 v28, 0x3eedf032, v28
	v_add_f32_e32 v67, v67, v72
	v_add_f32_e32 v72, v40, v30
	v_mul_f32_e32 v74, 0xbf7e222b, v69
	v_sub_f32_e32 v30, v30, v40
	v_add_f32_e32 v65, v65, v71
	v_fma_f32 v71, 0x3f62ad3f, v78, -v70
	v_fmamk_f32 v73, v29, 0x3f62ad3f, v28
	v_fmac_f32_e32 v70, 0x3f62ad3f, v78
	v_fma_f32 v28, 0x3f62ad3f, v29, -v28
	v_fma_f32 v29, 0x3df6dbef, v72, -v74
	v_add_f32_e32 v31, v41, v31
	v_mul_f32_e32 v40, 0xbf7e222b, v30
	v_add_f32_e32 v41, v70, v44
	v_add_f32_e32 v28, v28, v42
	;; [unrolled: 1-line block ×3, first 2 shown]
	v_mul_f32_e32 v45, 0xbe750f2a, v30
	v_fmamk_f32 v44, v31, 0x3df6dbef, v40
	v_fma_f32 v40, 0x3df6dbef, v31, -v40
	v_mul_f32_e32 v42, 0xbe750f2a, v69
	v_fmac_f32_e32 v74, 0x3df6dbef, v72
	v_add_f32_e32 v71, v71, v75
	v_add_f32_e32 v44, v44, v55
	;; [unrolled: 1-line block ×3, first 2 shown]
	v_fmamk_f32 v43, v31, 0xbf788fa5, v45
	v_fma_f32 v70, 0xbf788fa5, v72, -v42
	v_add_f32_e32 v55, v74, v64
	v_mul_f32_e32 v64, 0x3f6f5d39, v69
	v_fmac_f32_e32 v42, 0xbf788fa5, v72
	v_fma_f32 v45, 0xbf788fa5, v31, -v45
	v_add_f32_e32 v43, v43, v52
	v_mul_f32_e32 v52, 0x3f6f5d39, v30
	v_add_f32_e32 v53, v70, v53
	v_fma_f32 v70, 0xbeb58ec6, v72, -v64
	v_add_f32_e32 v42, v42, v54
	v_add_f32_e32 v45, v45, v56
	v_mul_f32_e32 v54, 0x3eedf032, v69
	v_fmamk_f32 v56, v31, 0xbeb58ec6, v52
	v_add_f32_e32 v66, v70, v66
	v_fmac_f32_e32 v64, 0xbeb58ec6, v72
	v_fma_f32 v52, 0xbeb58ec6, v31, -v52
	v_fma_f32 v70, 0x3f62ad3f, v72, -v54
	v_add_f32_e32 v51, v56, v51
	v_mul_f32_e32 v56, 0x3eedf032, v30
	v_add_f32_e32 v57, v64, v57
	v_add_f32_e32 v52, v52, v60
	;; [unrolled: 1-line block ×3, first 2 shown]
	v_mul_f32_e32 v60, 0xbf52af12, v69
	v_fmamk_f32 v64, v31, 0x3f62ad3f, v56
	v_fmac_f32_e32 v54, 0x3f62ad3f, v72
	v_mul_f32_e32 v70, 0xbf52af12, v30
	v_fma_f32 v56, 0x3f62ad3f, v31, -v56
	v_fma_f32 v74, 0x3f116cb1, v72, -v60
	v_add_f32_e32 v64, v64, v65
	v_add_f32_e32 v54, v54, v58
	v_fmamk_f32 v58, v31, 0x3f116cb1, v70
	v_mul_f32_e32 v65, 0xbf29c268, v69
	v_fmac_f32_e32 v60, 0x3f116cb1, v72
	v_add_f32_e32 v56, v56, v59
	v_add_f32_e32 v59, v74, v68
	;; [unrolled: 1-line block ×3, first 2 shown]
	v_fma_f32 v63, 0x3f116cb1, v31, -v70
	v_fma_f32 v68, 0xbf3f9e67, v72, -v65
	v_add_f32_e32 v60, v60, v61
	v_sub_f32_e32 v61, v5, v23
	v_mul_f32_e32 v30, 0xbf29c268, v30
	v_add_f32_e32 v63, v63, v67
	v_add_f32_e32 v67, v68, v71
	;; [unrolled: 1-line block ×3, first 2 shown]
	v_mul_f32_e32 v70, 0xbf6f5d39, v61
	v_sub_f32_e32 v4, v4, v22
	v_fmamk_f32 v69, v31, 0xbf3f9e67, v30
	v_fmac_f32_e32 v65, 0xbf3f9e67, v72
	v_fma_f32 v22, 0xbf3f9e67, v31, -v30
	v_fma_f32 v30, 0xbeb58ec6, v68, -v70
	v_add_f32_e32 v5, v23, v5
	v_mul_f32_e32 v23, 0xbf6f5d39, v4
	v_add_f32_e32 v31, v65, v41
	v_add_f32_e32 v22, v22, v28
	;; [unrolled: 1-line block ×3, first 2 shown]
	v_mul_f32_e32 v29, 0x3f29c268, v61
	v_fmamk_f32 v30, v5, 0xbeb58ec6, v23
	v_fmac_f32_e32 v70, 0xbeb58ec6, v68
	v_fma_f32 v23, 0xbeb58ec6, v5, -v23
	v_mul_f32_e32 v41, 0x3f29c268, v4
	v_fma_f32 v65, 0xbf3f9e67, v68, -v29
	v_add_f32_e32 v30, v30, v44
	v_add_f32_e32 v44, v70, v55
	v_add_f32_e32 v23, v23, v40
	v_fmamk_f32 v40, v5, 0xbf3f9e67, v41
	v_mul_f32_e32 v55, 0x3eedf032, v61
	v_fmac_f32_e32 v29, 0xbf3f9e67, v68
	v_add_f32_e32 v53, v65, v53
	v_fma_f32 v41, 0xbf3f9e67, v5, -v41
	v_add_f32_e32 v40, v40, v43
	v_mul_f32_e32 v43, 0x3eedf032, v4
	v_fma_f32 v65, 0x3f62ad3f, v68, -v55
	v_add_f32_e32 v29, v29, v42
	v_mul_f32_e32 v42, 0xbf7e222b, v61
	v_add_f32_e32 v41, v41, v45
	v_fmamk_f32 v45, v5, 0x3f62ad3f, v43
	v_add_f32_e32 v65, v65, v66
	v_fma_f32 v43, 0x3f62ad3f, v5, -v43
	v_fma_f32 v66, 0x3df6dbef, v68, -v42
	v_fmac_f32_e32 v42, 0x3df6dbef, v68
	v_fmac_f32_e32 v55, 0x3f62ad3f, v68
	v_add_f32_e32 v45, v45, v51
	v_add_f32_e32 v43, v43, v52
	;; [unrolled: 1-line block ×3, first 2 shown]
	v_mul_f32_e32 v52, 0x3e750f2a, v61
	v_mul_f32_e32 v66, 0x3e750f2a, v4
	;; [unrolled: 1-line block ×3, first 2 shown]
	v_add_f32_e32 v42, v42, v54
	v_add_f32_e32 v55, v55, v57
	v_fma_f32 v70, 0xbf788fa5, v68, -v52
	v_fmamk_f32 v54, v5, 0xbf788fa5, v66
	v_fmac_f32_e32 v52, 0xbf788fa5, v68
	v_fmamk_f32 v57, v5, 0x3df6dbef, v51
	v_fma_f32 v51, 0x3df6dbef, v5, -v51
	v_mul_f32_e32 v4, 0x3f52af12, v4
	v_add_f32_e32 v54, v54, v58
	v_fma_f32 v58, 0xbf788fa5, v5, -v66
	v_add_f32_e32 v52, v52, v60
	v_sub_f32_e32 v60, v7, v21
	v_add_f32_e32 v57, v57, v64
	v_add_f32_e32 v51, v51, v56
	;; [unrolled: 1-line block ×3, first 2 shown]
	v_mul_f32_e32 v59, 0x3f52af12, v61
	v_fmamk_f32 v64, v5, 0x3f116cb1, v4
	v_add_f32_e32 v58, v58, v63
	v_add_f32_e32 v63, v20, v6
	v_mul_f32_e32 v66, 0xbf29c268, v60
	v_sub_f32_e32 v6, v6, v20
	v_fma_f32 v4, 0x3f116cb1, v5, -v4
	v_fma_f32 v61, 0x3f116cb1, v68, -v59
	v_fmac_f32_e32 v59, 0x3f116cb1, v68
	v_fma_f32 v5, 0xbf3f9e67, v63, -v66
	v_add_f32_e32 v7, v21, v7
	v_mul_f32_e32 v20, 0xbf29c268, v6
	v_add_f32_e32 v4, v4, v22
	v_mul_f32_e32 v22, 0x3f7e222b, v60
	v_add_f32_e32 v21, v59, v31
	v_add_f32_e32 v5, v5, v28
	v_fmamk_f32 v28, v7, 0xbf3f9e67, v20
	v_fmac_f32_e32 v66, 0xbf3f9e67, v63
	v_fma_f32 v20, 0xbf3f9e67, v7, -v20
	v_mul_f32_e32 v31, 0x3f7e222b, v6
	v_fma_f32 v59, 0x3df6dbef, v63, -v22
	v_add_f32_e32 v28, v28, v30
	v_add_f32_e32 v30, v66, v44
	;; [unrolled: 1-line block ×3, first 2 shown]
	v_fmamk_f32 v23, v7, 0x3df6dbef, v31
	v_add_f32_e32 v44, v59, v53
	v_mul_f32_e32 v53, 0xbf52af12, v60
	v_fmac_f32_e32 v22, 0x3df6dbef, v63
	v_fma_f32 v31, 0x3df6dbef, v7, -v31
	v_add_f32_e32 v23, v23, v40
	v_mul_f32_e32 v40, 0xbf52af12, v6
	v_fma_f32 v59, 0x3f116cb1, v63, -v53
	v_add_f32_e32 v22, v22, v29
	v_add_f32_e32 v29, v31, v41
	v_mul_f32_e32 v31, 0x3e750f2a, v60
	v_fmamk_f32 v41, v7, 0x3f116cb1, v40
	v_add_f32_e32 v59, v59, v65
	v_fmac_f32_e32 v53, 0x3f116cb1, v63
	v_fma_f32 v40, 0x3f116cb1, v7, -v40
	v_fma_f32 v65, 0xbf788fa5, v63, -v31
	v_add_f32_e32 v45, v41, v45
	v_mul_f32_e32 v41, 0x3e750f2a, v6
	v_fmac_f32_e32 v31, 0xbf788fa5, v63
	v_add_f32_e32 v53, v53, v55
	v_add_f32_e32 v50, v65, v50
	v_mul_f32_e32 v65, 0x3eedf032, v6
	v_add_f32_e32 v55, v40, v43
	v_mul_f32_e32 v40, 0x3eedf032, v60
	v_fmamk_f32 v43, v7, 0xbf788fa5, v41
	v_fma_f32 v41, 0xbf788fa5, v7, -v41
	v_add_f32_e32 v31, v31, v42
	v_fmamk_f32 v42, v7, 0x3f62ad3f, v65
	v_fma_f32 v66, 0x3f62ad3f, v63, -v40
	v_mul_f32_e32 v6, 0xbf6f5d39, v6
	v_add_f32_e32 v51, v41, v51
	v_mul_f32_e32 v41, 0xbf6f5d39, v60
	v_add_f32_e32 v54, v42, v54
	v_fma_f32 v42, 0x3f62ad3f, v7, -v65
	v_sub_f32_e32 v60, v1, v3
	v_add_f32_e32 v73, v73, v77
	v_add_f32_e32 v56, v66, v56
	;; [unrolled: 1-line block ×4, first 2 shown]
	v_mul_f32_e32 v42, 0xbe750f2a, v60
	v_sub_f32_e32 v66, v0, v2
	v_fma_f32 v0, 0xbeb58ec6, v7, -v6
	v_add_f32_e32 v69, v69, v73
	v_add_f32_e32 v61, v61, v67
	v_add_f32_e32 v57, v43, v57
	v_fmac_f32_e32 v40, 0x3f62ad3f, v63
	v_fma_f32 v43, 0xbeb58ec6, v63, -v41
	v_fmac_f32_e32 v41, 0xbeb58ec6, v63
	v_fma_f32 v2, 0xbf788fa5, v65, -v42
	v_add_f32_e32 v67, v3, v1
	v_mul_f32_e32 v1, 0xbe750f2a, v66
	v_add_f32_e32 v68, v0, v4
	v_mul_f32_e32 v4, 0x3eedf032, v60
	v_add_f32_e32 v64, v64, v69
	v_add_f32_e32 v52, v40, v52
	v_fmamk_f32 v40, v7, 0xbeb58ec6, v6
	v_add_f32_e32 v63, v41, v21
	v_add_f32_e32 v2, v2, v5
	v_fmamk_f32 v0, v67, 0xbf788fa5, v1
	v_fmac_f32_e32 v42, 0xbf788fa5, v65
	v_fma_f32 v1, 0xbf788fa5, v67, -v1
	v_mul_f32_e32 v5, 0x3eedf032, v66
	v_fma_f32 v6, 0x3f62ad3f, v65, -v4
	v_fmac_f32_e32 v4, 0x3f62ad3f, v65
	v_mul_f32_e32 v7, 0xbf29c268, v66
	v_mul_f32_e32 v21, 0x3f52af12, v60
	v_add_f32_e32 v64, v40, v64
	v_add_f32_e32 v40, v42, v30
	;; [unrolled: 1-line block ×3, first 2 shown]
	v_fmamk_f32 v1, v67, 0x3f62ad3f, v5
	v_mul_f32_e32 v20, 0xbf29c268, v60
	v_fma_f32 v5, 0x3f62ad3f, v67, -v5
	v_add_f32_e32 v42, v4, v22
	v_fmamk_f32 v4, v67, 0xbf3f9e67, v7
	v_fma_f32 v22, 0x3f116cb1, v65, -v21
	v_add_f32_e32 v61, v43, v61
	v_add_f32_e32 v3, v0, v28
	;; [unrolled: 1-line block ×4, first 2 shown]
	v_fma_f32 v6, 0xbf3f9e67, v65, -v20
	v_add_f32_e32 v43, v5, v29
	v_fmac_f32_e32 v20, 0xbf3f9e67, v65
	v_fma_f32 v5, 0xbf3f9e67, v67, -v7
	v_add_f32_e32 v7, v4, v45
	v_mul_f32_e32 v23, 0x3f52af12, v66
	v_add_f32_e32 v4, v22, v50
	v_mul_f32_e32 v22, 0xbf6f5d39, v60
	v_add_f32_e32 v44, v20, v53
	v_add_f32_e32 v45, v5, v55
	v_fma_f32 v20, 0x3f116cb1, v67, -v23
	v_fmamk_f32 v5, v67, 0x3f116cb1, v23
	v_fma_f32 v28, 0xbeb58ec6, v65, -v22
	v_fmac_f32_e32 v21, 0x3f116cb1, v65
	v_mul_f32_e32 v23, 0xbf6f5d39, v66
	v_add_f32_e32 v51, v20, v51
	v_add_f32_e32 v5, v5, v57
	;; [unrolled: 1-line block ×3, first 2 shown]
	v_mul_f32_e32 v28, 0x3f7e222b, v60
	v_add_f32_e32 v50, v21, v31
	v_fmamk_f32 v21, v67, 0xbeb58ec6, v23
	v_fma_f32 v23, 0xbeb58ec6, v67, -v23
	v_fmac_f32_e32 v22, 0xbeb58ec6, v65
	v_fma_f32 v29, 0x3df6dbef, v65, -v28
	v_mul_f32_e32 v30, 0x3f7e222b, v66
	v_fmac_f32_e32 v28, 0x3df6dbef, v65
	v_add_f32_e32 v57, v23, v58
	v_add_f32_e32 v65, v48, v10
	;; [unrolled: 1-line block ×3, first 2 shown]
	v_sub_f32_e32 v29, v11, v49
	v_add_f32_e32 v56, v22, v52
	v_fmamk_f32 v22, v67, 0x3df6dbef, v30
	v_add_f32_e32 v60, v28, v63
	v_sub_f32_e32 v28, v10, v48
	v_mul_f32_e32 v23, 0xbf52af12, v29
	v_mul_f32_e32 v63, 0xbeedf032, v29
	v_sub_f32_e32 v53, v37, v27
	v_add_f32_e32 v6, v6, v59
	v_add_f32_e32 v59, v22, v64
	v_fma_f32 v52, 0x3f116cb1, v65, -v23
	v_fma_f32 v22, 0x3df6dbef, v67, -v30
	v_add_f32_e32 v66, v49, v11
	v_mul_f32_e32 v64, 0xbeedf032, v28
	v_fmamk_f32 v30, v65, 0x3f62ad3f, v63
	v_mul_f32_e32 v31, 0xbf52af12, v28
	v_add_f32_e32 v55, v52, v8
	v_sub_f32_e32 v52, v36, v26
	v_add_f32_e32 v69, v26, v36
	v_mul_f32_e32 v67, 0xbf52af12, v53
	v_mul_f32_e32 v71, 0xbf6f5d39, v53
	v_add_f32_e32 v21, v21, v54
	v_add_f32_e32 v61, v22, v68
	v_fma_f32 v22, 0x3f62ad3f, v66, -v64
	v_add_f32_e32 v30, v30, v8
	v_fmamk_f32 v54, v66, 0x3f116cb1, v31
	v_fmac_f32_e32 v23, 0x3f116cb1, v65
	v_add_f32_e32 v70, v27, v37
	v_mul_f32_e32 v68, 0xbf52af12, v52
	v_fmamk_f32 v72, v69, 0x3f116cb1, v67
	v_mul_f32_e32 v74, 0xbf6f5d39, v52
	v_fma_f32 v75, 0xbeb58ec6, v69, -v71
	v_add_f32_e32 v22, v22, v9
	v_add_f32_e32 v54, v54, v9
	;; [unrolled: 1-line block ×3, first 2 shown]
	v_fma_f32 v73, 0x3f116cb1, v70, -v68
	v_add_f32_e32 v30, v72, v30
	v_fmamk_f32 v72, v70, 0xbeb58ec6, v74
	v_fmac_f32_e32 v71, 0xbeb58ec6, v69
	v_add_f32_e32 v75, v75, v55
	v_sub_f32_e32 v55, v39, v25
	v_add_f32_e32 v22, v73, v22
	v_add_f32_e32 v76, v72, v54
	;; [unrolled: 1-line block ×3, first 2 shown]
	v_sub_f32_e32 v54, v38, v24
	v_add_f32_e32 v73, v24, v38
	v_mul_f32_e32 v71, 0xbf7e222b, v55
	v_fma_f32 v77, 0xbeb58ec6, v70, -v74
	v_add_f32_e32 v74, v25, v39
	v_mul_f32_e32 v81, 0xbe750f2a, v54
	v_fma_f32 v31, 0x3f116cb1, v66, -v31
	v_fmamk_f32 v79, v73, 0x3df6dbef, v71
	v_mul_f32_e32 v78, 0xbe750f2a, v55
	v_mul_f32_e32 v72, 0xbf7e222b, v54
	v_sub_f32_e32 v127, v35, v13
	v_add_f32_e32 v31, v31, v9
	v_add_f32_e32 v30, v79, v30
	v_fmamk_f32 v79, v74, 0xbf788fa5, v81
	v_fma_f32 v80, 0xbf788fa5, v73, -v78
	v_fmac_f32_e32 v78, 0xbf788fa5, v73
	v_add_f32_e32 v31, v77, v31
	v_fma_f32 v77, 0x3df6dbef, v74, -v72
	v_add_f32_e32 v83, v79, v76
	v_sub_f32_e32 v79, v32, v14
	v_add_f32_e32 v82, v80, v75
	v_sub_f32_e32 v80, v33, v15
	v_add_f32_e32 v23, v78, v23
	v_fma_f32 v81, 0xbf788fa5, v74, -v81
	v_add_f32_e32 v78, v15, v33
	v_mul_f32_e32 v76, 0xbf6f5d39, v79
	v_add_f32_e32 v22, v77, v22
	v_add_f32_e32 v77, v14, v32
	v_mul_f32_e32 v113, 0x3f29c268, v80
	v_add_f32_e32 v31, v81, v31
	v_fma_f32 v81, 0xbeb58ec6, v78, -v76
	v_mul_f32_e32 v75, 0xbf6f5d39, v80
	v_mul_f32_e32 v115, 0x3f29c268, v79
	v_fma_f32 v116, 0xbf3f9e67, v77, -v113
	v_fmac_f32_e32 v113, 0xbf3f9e67, v77
	v_add_f32_e32 v22, v81, v22
	v_mul_lo_u16 v81, v124, 13
	v_fmamk_f32 v114, v77, 0xbeb58ec6, v75
	v_add_f32_e32 v116, v116, v82
	v_sub_f32_e32 v130, v34, v12
	v_add_f32_e32 v23, v113, v23
	v_and_b32_e32 v82, 0xffff, v81
	v_add_f32_e32 v30, v114, v30
	v_fmamk_f32 v114, v78, 0xbf3f9e67, v115
	v_fma_f32 v113, 0xbf3f9e67, v78, -v115
	v_add_f32_e32 v115, v13, v35
	v_lshl_add_u32 v129, v82, 3, v125
	v_mul_f32_e32 v81, 0xbf29c268, v127
	v_add_f32_e32 v114, v114, v83
	v_add_f32_e32 v83, v12, v34
	v_mul_f32_e32 v82, 0xbf29c268, v130
	s_barrier
	buffer_gl0_inv
	ds_write2_b64 v129, v[46:47], v[2:3] offset1:1
	v_mul_f32_e32 v3, 0x3f7e222b, v130
	v_mul_f32_e32 v2, 0x3f7e222b, v127
	v_fmamk_f32 v46, v83, 0xbf3f9e67, v81
	v_fma_f32 v47, 0xbf3f9e67, v115, -v82
	v_sub_f32_e32 v133, v17, v19
	v_fmamk_f32 v126, v115, 0x3df6dbef, v3
	v_add_f32_e32 v31, v113, v31
	v_fma_f32 v113, 0x3df6dbef, v83, -v2
	v_add_f32_e32 v30, v46, v30
	v_add_f32_e32 v22, v47, v22
	v_mul_f32_e32 v46, 0xbf7e222b, v29
	v_add_f32_e32 v132, v126, v114
	v_fmac_f32_e32 v2, 0x3df6dbef, v83
	v_add_f32_e32 v126, v18, v16
	v_sub_f32_e32 v134, v16, v18
	v_mul_f32_e32 v47, 0xbe750f2a, v133
	v_add_f32_e32 v131, v113, v116
	ds_write2_b64 v129, v[0:1], v[6:7] offset0:2 offset1:3
	v_add_f32_e32 v0, v2, v23
	v_fma_f32 v1, 0x3df6dbef, v115, -v3
	v_add_f32_e32 v128, v19, v17
	v_mul_f32_e32 v116, 0xbe750f2a, v134
	v_fmamk_f32 v2, v126, 0xbf788fa5, v47
	ds_write2_b64 v129, v[4:5], v[20:21] offset0:4 offset1:5
	v_mul_f32_e32 v3, 0x3eedf032, v133
	v_fma_f32 v5, 0x3df6dbef, v65, -v46
	v_mul_f32_e32 v6, 0xbe750f2a, v53
	v_mul_f32_e32 v4, 0x3eedf032, v134
	v_add_f32_e32 v113, v2, v30
	v_fma_f32 v2, 0xbf788fa5, v128, -v116
	v_fma_f32 v7, 0x3f62ad3f, v126, -v3
	v_add_f32_e32 v5, v5, v8
	v_fma_f32 v21, 0xbf788fa5, v69, -v6
	v_mul_f32_e32 v23, 0x3f6f5d39, v55
	v_add_f32_e32 v1, v1, v31
	v_fmamk_f32 v20, v128, 0x3f62ad3f, v4
	v_fmac_f32_e32 v3, 0x3f62ad3f, v126
	v_fma_f32 v30, 0x3f62ad3f, v128, -v4
	v_add_f32_e32 v114, v2, v22
	v_add_f32_e32 v4, v7, v131
	;; [unrolled: 1-line block ×3, first 2 shown]
	v_fma_f32 v21, 0xbeb58ec6, v73, -v23
	v_mul_f32_e32 v22, 0x3eedf032, v80
	v_mul_f32_e32 v31, 0xbf7e222b, v28
	v_add_f32_e32 v5, v20, v132
	v_add_f32_e32 v2, v3, v0
	;; [unrolled: 1-line block ×3, first 2 shown]
	v_fma_f32 v7, 0x3f62ad3f, v77, -v22
	v_fmamk_f32 v20, v66, 0x3df6dbef, v31
	v_mul_f32_e32 v21, 0xbe750f2a, v52
	v_add_f32_e32 v3, v30, v1
	v_mul_f32_e32 v1, 0xbf52af12, v127
	v_add_f32_e32 v0, v7, v0
	v_add_f32_e32 v7, v20, v9
	v_fmamk_f32 v20, v70, 0xbf788fa5, v21
	v_mul_f32_e32 v30, 0x3f6f5d39, v54
	v_fma_f32 v131, 0x3f116cb1, v83, -v1
	v_fmac_f32_e32 v46, 0x3df6dbef, v65
	v_mul_f32_e32 v132, 0xbf29c268, v133
	v_add_f32_e32 v7, v20, v7
	v_fmamk_f32 v20, v74, 0xbeb58ec6, v30
	v_mul_f32_e32 v135, 0x3eedf032, v79
	v_add_f32_e32 v46, v46, v8
	v_fmac_f32_e32 v6, 0xbf788fa5, v69
	v_add_f32_e32 v0, v131, v0
	v_fma_f32 v131, 0xbf3f9e67, v126, -v132
	v_add_f32_e32 v7, v20, v7
	v_fmamk_f32 v20, v78, 0x3f62ad3f, v135
	v_add_f32_e32 v46, v6, v46
	v_fmac_f32_e32 v23, 0xbeb58ec6, v73
	v_add_f32_e32 v6, v131, v0
	v_fma_f32 v0, 0x3df6dbef, v66, -v31
	v_add_f32_e32 v7, v20, v7
	v_mul_f32_e32 v20, 0xbf52af12, v130
	v_add_f32_e32 v23, v23, v46
	v_fmac_f32_e32 v22, 0x3f62ad3f, v77
	v_add_f32_e32 v0, v0, v9
	v_fma_f32 v21, 0xbf788fa5, v70, -v21
	v_fmamk_f32 v31, v115, 0x3f116cb1, v20
	v_mul_f32_e32 v46, 0xbf29c268, v134
	v_add_f32_e32 v22, v22, v23
	v_fmac_f32_e32 v1, 0x3f116cb1, v83
	v_add_f32_e32 v0, v21, v0
	v_fma_f32 v21, 0xbeb58ec6, v74, -v30
	v_add_f32_e32 v7, v31, v7
	v_fmamk_f32 v23, v128, 0xbf3f9e67, v46
	v_add_f32_e32 v1, v1, v22
	v_fmac_f32_e32 v132, 0xbf3f9e67, v126
	v_add_f32_e32 v21, v21, v0
	v_fma_f32 v22, 0x3f62ad3f, v78, -v135
	v_mul_f32_e32 v30, 0xbf6f5d39, v29
	v_add_f32_e32 v7, v23, v7
	v_mul_f32_e32 v23, 0xbf6f5d39, v28
	v_add_f32_e32 v0, v132, v1
	v_add_f32_e32 v1, v22, v21
	v_fma_f32 v21, 0xbeb58ec6, v65, -v30
	v_mul_f32_e32 v22, 0x3f29c268, v53
	v_fmamk_f32 v31, v66, 0xbeb58ec6, v23
	v_mul_f32_e32 v131, 0x3f29c268, v52
	v_fma_f32 v20, 0x3f116cb1, v115, -v20
	v_add_f32_e32 v21, v21, v8
	v_fma_f32 v132, 0xbf3f9e67, v69, -v22
	v_add_f32_e32 v31, v31, v9
	v_fmamk_f32 v135, v70, 0xbf3f9e67, v131
	v_mul_f32_e32 v136, 0x3eedf032, v55
	v_add_f32_e32 v1, v20, v1
	v_mul_f32_e32 v20, 0x3eedf032, v54
	v_add_f32_e32 v21, v132, v21
	v_add_f32_e32 v31, v135, v31
	v_fma_f32 v132, 0x3f62ad3f, v73, -v136
	v_mul_f32_e32 v135, 0xbf7e222b, v80
	v_fmamk_f32 v137, v74, 0x3f62ad3f, v20
	v_mul_f32_e32 v138, 0xbf7e222b, v79
	v_fma_f32 v46, 0xbf3f9e67, v128, -v46
	v_add_f32_e32 v21, v132, v21
	v_fma_f32 v132, 0x3df6dbef, v77, -v135
	v_add_f32_e32 v31, v137, v31
	v_fmamk_f32 v137, v78, 0x3df6dbef, v138
	v_add_f32_e32 v1, v46, v1
	v_mul_f32_e32 v46, 0x3e750f2a, v127
	v_fmac_f32_e32 v30, 0xbeb58ec6, v65
	v_fma_f32 v23, 0xbeb58ec6, v66, -v23
	v_add_f32_e32 v21, v132, v21
	v_add_f32_e32 v31, v137, v31
	v_fma_f32 v132, 0xbf788fa5, v83, -v46
	v_mul_f32_e32 v137, 0x3e750f2a, v130
	v_add_f32_e32 v30, v30, v8
	v_fmac_f32_e32 v22, 0xbf3f9e67, v69
	v_add_f32_e32 v23, v23, v9
	v_fma_f32 v131, 0xbf3f9e67, v70, -v131
	v_mul_f32_e32 v139, 0x3f52af12, v133
	v_add_f32_e32 v21, v132, v21
	v_fmamk_f32 v132, v115, 0xbf788fa5, v137
	v_add_f32_e32 v22, v22, v30
	v_add_f32_e32 v23, v131, v23
	v_fmac_f32_e32 v136, 0x3f62ad3f, v73
	v_fma_f32 v20, 0x3f62ad3f, v74, -v20
	v_fma_f32 v131, 0x3f116cb1, v126, -v139
	v_add_f32_e32 v30, v132, v31
	v_mul_f32_e32 v31, 0x3f52af12, v134
	v_add_f32_e32 v22, v136, v22
	v_add_f32_e32 v23, v20, v23
	v_fmac_f32_e32 v135, 0x3df6dbef, v77
	v_fma_f32 v132, 0x3df6dbef, v78, -v138
	v_add_f32_e32 v20, v131, v21
	v_mul_f32_e32 v131, 0xbf29c268, v29
	v_fmamk_f32 v136, v128, 0x3f116cb1, v31
	v_add_f32_e32 v22, v135, v22
	v_add_f32_e32 v23, v132, v23
	v_fmac_f32_e32 v46, 0xbf788fa5, v83
	v_fma_f32 v132, 0xbf788fa5, v115, -v137
	v_fma_f32 v135, 0xbf3f9e67, v65, -v131
	v_mul_f32_e32 v137, 0x3f7e222b, v53
	v_add_f32_e32 v21, v136, v30
	v_add_f32_e32 v22, v46, v22
	v_fmac_f32_e32 v139, 0x3f116cb1, v126
	v_add_f32_e32 v30, v135, v8
	v_fma_f32 v46, 0x3df6dbef, v69, -v137
	v_mul_f32_e32 v135, 0xbf29c268, v28
	v_add_f32_e32 v23, v132, v23
	v_mul_f32_e32 v132, 0xbf52af12, v55
	v_fma_f32 v31, 0x3f116cb1, v128, -v31
	v_add_f32_e32 v46, v46, v30
	v_add_f32_e32 v30, v139, v22
	v_fmamk_f32 v22, v66, 0xbf3f9e67, v135
	v_mul_f32_e32 v139, 0x3f7e222b, v52
	v_fma_f32 v136, 0x3f116cb1, v73, -v132
	v_mul_f32_e32 v138, 0x3e750f2a, v80
	v_mul_f32_e32 v142, 0xbf52af12, v54
	v_add_f32_e32 v22, v22, v9
	v_fmamk_f32 v141, v70, 0x3df6dbef, v139
	v_add_f32_e32 v46, v136, v46
	v_fma_f32 v136, 0xbf788fa5, v77, -v138
	v_mul_f32_e32 v140, 0x3eedf032, v127
	v_add_f32_e32 v31, v31, v23
	v_add_f32_e32 v22, v141, v22
	v_fmamk_f32 v23, v74, 0x3f116cb1, v142
	v_mul_f32_e32 v141, 0x3e750f2a, v79
	v_fmac_f32_e32 v131, 0xbf3f9e67, v65
	v_add_f32_e32 v46, v136, v46
	v_fma_f32 v136, 0x3f62ad3f, v83, -v140
	v_add_f32_e32 v22, v23, v22
	v_fmamk_f32 v23, v78, 0xbf788fa5, v141
	v_add_f32_e32 v131, v131, v8
	v_fmac_f32_e32 v137, 0x3df6dbef, v69
	v_add_f32_e32 v46, v136, v46
	v_mul_f32_e32 v136, 0xbf6f5d39, v133
	v_mul_f32_e32 v143, 0x3eedf032, v130
	v_add_f32_e32 v22, v23, v22
	v_fma_f32 v23, 0xbf3f9e67, v66, -v135
	v_add_f32_e32 v131, v137, v131
	v_fmac_f32_e32 v132, 0x3f116cb1, v73
	v_fma_f32 v144, 0xbeb58ec6, v126, -v136
	v_fmamk_f32 v135, v115, 0x3f62ad3f, v143
	v_mul_f32_e32 v137, 0xbf6f5d39, v134
	v_add_f32_e32 v23, v23, v9
	v_fma_f32 v139, 0x3df6dbef, v70, -v139
	v_add_f32_e32 v131, v132, v131
	v_fmac_f32_e32 v138, 0xbf788fa5, v77
	v_add_f32_e32 v135, v135, v22
	v_fmamk_f32 v132, v128, 0xbeb58ec6, v137
	v_add_f32_e32 v139, v139, v23
	v_fma_f32 v142, 0x3f116cb1, v74, -v142
	v_add_f32_e32 v22, v144, v46
	v_add_f32_e32 v46, v138, v131
	v_fmac_f32_e32 v140, 0x3f62ad3f, v83
	v_add_f32_e32 v23, v132, v135
	v_add_f32_e32 v131, v142, v139
	v_fma_f32 v132, 0xbf788fa5, v78, -v141
	v_mul_f32_e32 v135, 0xbe750f2a, v29
	v_add_f32_e32 v29, v140, v46
	v_mul_f32_e32 v46, 0xbe750f2a, v28
	v_mul_f32_e32 v53, 0x3eedf032, v53
	v_add_f32_e32 v28, v132, v131
	v_fma_f32 v131, 0xbf788fa5, v65, -v135
	v_mul_f32_e32 v52, 0x3eedf032, v52
	v_fmamk_f32 v132, v66, 0xbf788fa5, v46
	v_fmac_f32_e32 v135, 0xbf788fa5, v65
	v_fma_f32 v46, 0xbf788fa5, v66, -v46
	v_fma_f32 v138, 0x3f62ad3f, v115, -v143
	v_add_f32_e32 v131, v131, v8
	v_fma_f32 v139, 0x3f62ad3f, v69, -v53
	v_add_f32_e32 v132, v132, v9
	v_fmamk_f32 v140, v70, 0x3f62ad3f, v52
	v_mul_f32_e32 v55, 0xbf29c268, v55
	v_mul_f32_e32 v54, 0xbf29c268, v54
	v_add_f32_e32 v135, v135, v8
	v_fmac_f32_e32 v53, 0x3f62ad3f, v69
	v_add_f32_e32 v46, v46, v9
	v_fma_f32 v52, 0x3f62ad3f, v70, -v52
	v_add_f32_e32 v138, v138, v28
	v_add_f32_e32 v28, v139, v131
	;; [unrolled: 1-line block ×3, first 2 shown]
	v_fma_f32 v132, 0xbf3f9e67, v73, -v55
	v_mul_f32_e32 v80, 0x3f52af12, v80
	v_fmamk_f32 v139, v74, 0xbf3f9e67, v54
	v_mul_f32_e32 v79, 0x3f52af12, v79
	v_add_f32_e32 v53, v53, v135
	v_fmac_f32_e32 v55, 0xbf3f9e67, v73
	v_add_f32_e32 v46, v52, v46
	v_fma_f32 v52, 0xbf3f9e67, v74, -v54
	v_fmac_f32_e32 v136, 0xbeb58ec6, v126
	v_fma_f32 v137, 0xbeb58ec6, v128, -v137
	v_add_f32_e32 v132, v132, v28
	v_fma_f32 v140, 0x3f116cb1, v77, -v80
	v_add_f32_e32 v131, v139, v131
	v_fmamk_f32 v139, v78, 0x3f116cb1, v79
	v_mul_f32_e32 v127, 0xbf6f5d39, v127
	v_mul_f32_e32 v130, 0xbf6f5d39, v130
	v_add_f32_e32 v53, v55, v53
	v_fmac_f32_e32 v80, 0x3f116cb1, v77
	v_add_f32_e32 v46, v52, v46
	v_fma_f32 v52, 0x3f116cb1, v78, -v79
	v_add_f32_e32 v28, v136, v29
	v_add_f32_e32 v29, v137, v138
	;; [unrolled: 1-line block ×4, first 2 shown]
	v_fma_f32 v136, 0xbeb58ec6, v83, -v127
	v_fmamk_f32 v137, v115, 0xbeb58ec6, v130
	v_mul_f32_e32 v55, 0x3f7e222b, v133
	v_mul_f32_e32 v79, 0x3f7e222b, v134
	v_add_f32_e32 v53, v80, v53
	v_fmac_f32_e32 v127, 0xbeb58ec6, v83
	v_add_f32_e32 v46, v52, v46
	v_fma_f32 v52, 0xbeb58ec6, v115, -v130
	v_add_f32_e32 v54, v136, v132
	v_add_f32_e32 v131, v137, v131
	v_fma_f32 v80, 0x3df6dbef, v126, -v55
	v_fmamk_f32 v130, v128, 0x3df6dbef, v79
	v_add_f32_e32 v127, v127, v53
	v_fmac_f32_e32 v55, 0x3df6dbef, v126
	v_add_f32_e32 v132, v52, v46
	v_fma_f32 v79, 0x3df6dbef, v128, -v79
	v_add_co_u32 v46, null, v124, 13
	v_add_f32_e32 v52, v80, v54
	v_add_f32_e32 v53, v130, v131
	;; [unrolled: 1-line block ×4, first 2 shown]
	v_mul_u32_u24_e32 v127, 13, v46
	ds_write2_b64 v129, v[58:59], v[60:61] offset0:6 offset1:7
	ds_write2_b64 v129, v[56:57], v[50:51] offset0:8 offset1:9
	;; [unrolled: 1-line block ×3, first 2 shown]
	ds_write_b64 v129, v[40:41] offset:96
	s_and_saveexec_b32 s0, vcc_lo
	s_cbranch_execz .LBB0_7
; %bb.6:
	v_add_f32_e32 v11, v11, v9
	v_add_f32_e32 v10, v10, v8
	v_mul_f32_e32 v40, 0x3f62ad3f, v65
	v_mul_f32_e32 v41, 0x3f62ad3f, v66
	;; [unrolled: 1-line block ×3, first 2 shown]
	v_add_f32_e32 v11, v37, v11
	v_add_f32_e32 v10, v36, v10
	v_mul_f32_e32 v43, 0x3f116cb1, v70
	v_mul_f32_e32 v44, 0x3df6dbef, v73
	;; [unrolled: 1-line block ×3, first 2 shown]
	v_add_f32_e32 v11, v39, v11
	v_add_f32_e32 v10, v38, v10
	;; [unrolled: 1-line block ×3, first 2 shown]
	v_mul_f32_e32 v50, 0xbeb58ec6, v77
	v_mul_f32_e32 v36, 0xbeb58ec6, v78
	v_add_f32_e32 v11, v33, v11
	v_add_f32_e32 v10, v32, v10
	v_sub_f32_e32 v32, v40, v63
	v_add_f32_e32 v9, v39, v9
	v_add_f32_e32 v33, v68, v43
	;; [unrolled: 1-line block ×5, first 2 shown]
	v_sub_f32_e32 v32, v42, v67
	v_add_f32_e32 v9, v33, v9
	v_add_f32_e32 v11, v17, v11
	;; [unrolled: 1-line block ×5, first 2 shown]
	v_sub_f32_e32 v17, v44, v71
	v_add_f32_e32 v11, v19, v11
	v_add_f32_e32 v10, v18, v10
	v_mul_f32_e32 v37, 0xbf3f9e67, v83
	v_mul_f32_e32 v51, 0xbf3f9e67, v115
	v_add_f32_e32 v9, v16, v9
	v_add_f32_e32 v11, v13, v11
	;; [unrolled: 1-line block ×5, first 2 shown]
	v_sub_f32_e32 v12, v50, v75
	v_add_f32_e32 v11, v15, v11
	v_add_f32_e32 v10, v14, v10
	v_mul_f32_e32 v38, 0xbf788fa5, v126
	v_mul_f32_e32 v41, 0xbf788fa5, v128
	v_add_f32_e32 v9, v16, v9
	v_add_f32_e32 v13, v82, v51
	;; [unrolled: 1-line block ×3, first 2 shown]
	v_sub_f32_e32 v12, v37, v81
	v_add_f32_e32 v11, v25, v11
	v_add_f32_e32 v10, v24, v10
	;; [unrolled: 1-line block ×5, first 2 shown]
	v_sub_f32_e32 v12, v38, v47
	v_add_f32_e32 v11, v27, v11
	v_add_f32_e32 v10, v26, v10
	;; [unrolled: 1-line block ×6, first 2 shown]
	v_lshl_add_u32 v12, v127, 3, v125
	ds_write2_b64 v12, v[10:11], v[8:9] offset1:1
	ds_write2_b64 v12, v[4:5], v[6:7] offset0:2 offset1:3
	ds_write2_b64 v12, v[20:21], v[22:23] offset0:4 offset1:5
	;; [unrolled: 1-line block ×5, first 2 shown]
	ds_write_b64 v12, v[113:114] offset:96
.LBB0_7:
	s_or_b32 exec_lo, exec_lo, s0
	v_add_co_u32 v44, null, v124, 26
	v_lshlrev_b32_e32 v45, 5, v124
	s_waitcnt lgkmcnt(0)
	s_barrier
	v_and_b32_e32 v12, 0xff, v44
	buffer_gl0_inv
	s_clause 0x1
	global_load_dwordx4 v[16:19], v45, s[2:3]
	global_load_dwordx4 v[8:11], v45, s[2:3] offset:16
	v_lshlrev_b32_e32 v56, 4, v124
	v_add_co_u32 v45, s0, s2, v45
	v_mul_lo_u16 v12, 0x4f, v12
	v_lshlrev_b32_e32 v61, 4, v46
	v_add_co_ci_u32_e64 v46, null, s3, 0, s0
	v_sub_co_u32 v45, s0, v45, v56
	v_lshrrev_b16 v12, 10, v12
	v_subrev_co_ci_u32_e64 v46, s0, 0, v46, s0
	s_add_u32 s0, s16, 0x618
	s_addc_u32 s1, s17, 0
	v_mul_lo_u16 v12, v12, 13
	v_sub_nc_u16 v51, v44, v12
	v_lshlrev_b16 v12, 2, v51
	v_and_b32_e32 v51, 0xff, v51
	v_and_b32_e32 v12, 0xfc, v12
	v_lshl_add_u32 v128, v51, 3, v125
	v_lshlrev_b32_e32 v12, 3, v12
	s_clause 0x1
	global_load_dwordx4 v[24:27], v12, s[2:3]
	global_load_dwordx4 v[12:15], v12, s[2:3] offset:16
	ds_read2_b64 v[36:39], v117 offset1:13
	ds_read2_b64 v[32:35], v117 offset0:26 offset1:39
	ds_read2_b64 v[47:50], v117 offset0:78 offset1:91
	ds_read2_b64 v[40:43], v117 offset0:104 offset1:117
	ds_read2_b64 v[57:60], v117 offset0:156 offset1:169
	ds_read2_b64 v[63:66], v117 offset0:52 offset1:65
	ds_read2_b64 v[67:70], v117 offset0:130 offset1:143
	ds_read_b64 v[71:72], v117 offset:1456
	s_waitcnt vmcnt(0) lgkmcnt(0)
	s_barrier
	buffer_gl0_inv
	v_mul_f32_e32 v51, v35, v17
	v_mul_f32_e32 v73, v34, v17
	;; [unrolled: 1-line block ×9, first 2 shown]
	v_fma_f32 v34, v34, v16, -v51
	v_fmac_f32_e32 v73, v35, v16
	v_fma_f32 v35, v47, v18, -v74
	v_fmac_f32_e32 v75, v48, v18
	;; [unrolled: 2-line block ×3, first 2 shown]
	v_mul_f32_e32 v83, v49, v19
	v_mul_f32_e32 v115, v68, v9
	;; [unrolled: 1-line block ×3, first 2 shown]
	v_fma_f32 v51, v57, v10, -v78
	v_fmac_f32_e32 v79, v58, v10
	v_mul_f32_e32 v80, v64, v17
	v_mul_f32_e32 v81, v63, v17
	;; [unrolled: 1-line block ×3, first 2 shown]
	v_fma_f32 v43, v49, v18, -v82
	v_add_f32_e32 v48, v36, v34
	v_add_f32_e32 v49, v35, v47
	;; [unrolled: 1-line block ×3, first 2 shown]
	v_mul_f32_e32 v116, v67, v9
	v_fmac_f32_e32 v83, v50, v18
	v_fma_f32 v57, v67, v8, -v115
	v_fma_f32 v67, v59, v10, -v126
	v_sub_f32_e32 v50, v34, v35
	v_sub_f32_e32 v58, v51, v47
	v_add_f32_e32 v59, v34, v51
	v_add_f32_e32 v74, v37, v73
	;; [unrolled: 1-line block ×3, first 2 shown]
	v_fma_f32 v42, v63, v16, -v80
	v_fmac_f32_e32 v81, v64, v16
	v_fmac_f32_e32 v130, v60, v10
	v_sub_f32_e32 v64, v73, v79
	v_sub_f32_e32 v60, v35, v34
	;; [unrolled: 1-line block ×5, first 2 shown]
	v_add_f32_e32 v48, v48, v35
	v_fma_f32 v34, -0.5, v49, v36
	v_fma_f32 v35, -0.5, v76, v37
	v_fmac_f32_e32 v116, v68, v8
	v_sub_f32_e32 v68, v75, v77
	v_add_f32_e32 v149, v50, v58
	v_fma_f32 v36, -0.5, v59, v36
	v_add_f32_e32 v50, v74, v75
	v_fma_f32 v37, -0.5, v126, v37
	v_add_f32_e32 v132, v38, v42
	v_add_f32_e32 v141, v39, v81
	v_sub_f32_e32 v82, v73, v75
	v_sub_f32_e32 v115, v79, v77
	v_add_f32_e32 v150, v60, v63
	v_add_f32_e32 v63, v48, v47
	v_fmamk_f32 v47, v64, 0x3f737871, v34
	v_fmamk_f32 v48, v78, 0xbf737871, v35
	v_sub_f32_e32 v73, v75, v73
	v_sub_f32_e32 v131, v77, v79
	v_fmamk_f32 v49, v68, 0xbf737871, v36
	v_fmac_f32_e32 v36, 0x3f737871, v68
	v_add_f32_e32 v77, v50, v77
	v_fmamk_f32 v50, v80, 0x3f737871, v37
	v_fmac_f32_e32 v37, 0xbf737871, v80
	v_add_f32_e32 v58, v132, v43
	v_add_f32_e32 v60, v141, v83
	v_fmac_f32_e32 v34, 0xbf737871, v64
	v_fmac_f32_e32 v35, 0x3f737871, v78
	v_add_f32_e32 v74, v82, v115
	v_fmac_f32_e32 v47, 0x3f167918, v68
	v_fmac_f32_e32 v48, 0xbf167918, v80
	v_add_f32_e32 v133, v43, v57
	v_add_f32_e32 v73, v73, v131
	v_fmac_f32_e32 v49, 0x3f167918, v64
	v_fmac_f32_e32 v36, 0xbf167918, v64
	;; [unrolled: 1-line block ×4, first 2 shown]
	v_sub_f32_e32 v134, v81, v130
	v_sub_f32_e32 v135, v83, v116
	v_add_f32_e32 v142, v83, v116
	v_sub_f32_e32 v145, v81, v83
	v_add_f32_e32 v147, v81, v130
	;; [unrolled: 2-line block ×3, first 2 shown]
	v_add_f32_e32 v115, v60, v116
	v_fmac_f32_e32 v34, 0xbf167918, v68
	v_fmac_f32_e32 v35, 0x3f167918, v80
	v_add_f32_e32 v138, v42, v67
	v_add_f32_e32 v63, v63, v51
	;; [unrolled: 1-line block ×3, first 2 shown]
	v_fmac_f32_e32 v47, 0x3e9e377a, v149
	v_fmac_f32_e32 v48, 0x3e9e377a, v74
	v_sub_f32_e32 v136, v42, v43
	v_sub_f32_e32 v139, v43, v42
	;; [unrolled: 1-line block ×3, first 2 shown]
	v_fma_f32 v42, -0.5, v133, v38
	v_fmac_f32_e32 v49, 0x3e9e377a, v150
	v_fmac_f32_e32 v36, 0x3e9e377a, v150
	;; [unrolled: 1-line block ×4, first 2 shown]
	v_sub_f32_e32 v137, v67, v57
	v_sub_f32_e32 v140, v57, v67
	v_add_f32_e32 v67, v83, v67
	v_add_f32_e32 v68, v115, v130
	v_fmac_f32_e32 v34, 0x3e9e377a, v149
	v_fmac_f32_e32 v35, 0x3e9e377a, v74
	v_fma_f32 v38, -0.5, v138, v38
	ds_write2_b64 v117, v[63:64], v[47:48] offset1:13
	ds_write2_b64 v117, v[49:50], v[36:37] offset0:26 offset1:39
	ds_write2_b64 v117, v[34:35], v[67:68] offset0:52 offset1:65
	v_mul_f32_e32 v34, v66, v25
	v_mul_f32_e32 v35, v65, v25
	;; [unrolled: 1-line block ×6, first 2 shown]
	v_sub_f32_e32 v144, v43, v57
	v_fmamk_f32 v57, v134, 0x3f737871, v42
	v_fmac_f32_e32 v42, 0xbf737871, v134
	v_mul_f32_e32 v49, v72, v15
	v_mul_f32_e32 v50, v71, v15
	v_fmamk_f32 v59, v135, 0xbf737871, v38
	v_fmac_f32_e32 v38, 0x3f737871, v135
	v_fma_f32 v34, v65, v24, -v34
	v_fmac_f32_e32 v35, v66, v24
	v_fma_f32 v36, v40, v26, -v36
	;; [unrolled: 2-line block ×3, first 2 shown]
	v_fmac_f32_e32 v48, v70, v12
	v_add_f32_e32 v75, v136, v137
	v_fmac_f32_e32 v57, 0x3f167918, v135
	v_fmac_f32_e32 v42, 0xbf167918, v135
	;; [unrolled: 1-line block ×3, first 2 shown]
	v_fma_f32 v47, v71, v14, -v49
	v_add_f32_e32 v76, v139, v140
	v_fmac_f32_e32 v59, 0x3f167918, v134
	v_fmac_f32_e32 v38, 0xbf167918, v134
	v_add_f32_e32 v41, v32, v34
	v_add_f32_e32 v49, v36, v40
	;; [unrolled: 1-line block ×4, first 2 shown]
	v_fmac_f32_e32 v57, 0x3e9e377a, v75
	v_fmac_f32_e32 v42, 0x3e9e377a, v75
	v_add_f32_e32 v66, v34, v47
	v_add_f32_e32 v75, v35, v50
	v_fma_f32 v43, -0.5, v142, v39
	v_fmac_f32_e32 v39, -0.5, v147
	v_fmac_f32_e32 v59, 0x3e9e377a, v76
	v_fmac_f32_e32 v38, 0x3e9e377a, v76
	v_sub_f32_e32 v51, v35, v50
	v_sub_f32_e32 v63, v37, v48
	;; [unrolled: 1-line block ×10, first 2 shown]
	v_add_f32_e32 v36, v41, v36
	v_fma_f32 v34, -0.5, v49, v32
	v_add_f32_e32 v37, v69, v37
	v_fma_f32 v35, -0.5, v70, v33
	v_fma_f32 v32, -0.5, v66, v32
	v_fmac_f32_e32 v33, -0.5, v75
	v_sub_f32_e32 v146, v130, v116
	v_sub_f32_e32 v148, v116, v130
	v_fmamk_f32 v58, v143, 0xbf737871, v43
	v_fmamk_f32 v60, v144, 0x3f737871, v39
	v_fmac_f32_e32 v43, 0x3f737871, v143
	v_fmac_f32_e32 v39, 0xbf737871, v144
	v_sub_f32_e32 v74, v50, v48
	v_sub_f32_e32 v77, v48, v50
	v_add_f32_e32 v49, v64, v65
	v_add_f32_e32 v64, v67, v68
	;; [unrolled: 1-line block ×3, first 2 shown]
	v_fmamk_f32 v36, v51, 0x3f737871, v34
	v_add_f32_e32 v48, v37, v48
	v_fmamk_f32 v37, v71, 0xbf737871, v35
	v_fmamk_f32 v40, v63, 0xbf737871, v32
	v_fmac_f32_e32 v32, 0x3f737871, v63
	v_fmamk_f32 v41, v72, 0x3f737871, v33
	v_fmac_f32_e32 v33, 0xbf737871, v72
	v_fmac_f32_e32 v34, 0xbf737871, v51
	;; [unrolled: 1-line block ×3, first 2 shown]
	v_add_f32_e32 v82, v145, v146
	v_add_f32_e32 v81, v81, v148
	v_fmac_f32_e32 v58, 0xbf167918, v144
	v_fmac_f32_e32 v60, 0xbf167918, v143
	;; [unrolled: 1-line block ×4, first 2 shown]
	v_add_f32_e32 v65, v73, v74
	v_fmac_f32_e32 v36, 0x3f167918, v63
	v_fmac_f32_e32 v37, 0xbf167918, v72
	v_add_f32_e32 v66, v76, v77
	v_fmac_f32_e32 v40, 0x3f167918, v51
	v_fmac_f32_e32 v32, 0xbf167918, v51
	;; [unrolled: 1-line block ×10, first 2 shown]
	v_add_f32_e32 v47, v67, v47
	v_add_f32_e32 v48, v48, v50
	v_fmac_f32_e32 v36, 0x3e9e377a, v49
	v_fmac_f32_e32 v37, 0x3e9e377a, v65
	;; [unrolled: 1-line block ×8, first 2 shown]
	ds_write2_b64 v117, v[57:58], v[59:60] offset0:78 offset1:91
	ds_write2_b64 v117, v[38:39], v[42:43] offset0:104 offset1:117
	;; [unrolled: 1-line block ×4, first 2 shown]
	ds_write_b64 v128, v[34:35] offset:1456
	v_lshlrev_b32_e32 v32, 4, v44
	v_add_nc_u32_e32 v33, 0x270, v56
	s_waitcnt lgkmcnt(0)
	s_barrier
	buffer_gl0_inv
	s_clause 0x2
	global_load_dwordx4 v[48:51], v[45:46], off offset:416
	global_load_dwordx4 v[44:47], v61, s[2:3] offset:416
	global_load_dwordx4 v[40:43], v32, s[2:3] offset:416
	v_add_nc_u32_e32 v32, 0x340, v56
	s_clause 0x1
	global_load_dwordx4 v[36:39], v33, s[2:3] offset:416
	global_load_dwordx4 v[32:35], v32, s[2:3] offset:416
	ds_read2_b64 v[58:61], v117 offset0:52 offset1:65
	ds_read2_b64 v[63:66], v117 offset0:130 offset1:143
	;; [unrolled: 1-line block ×5, first 2 shown]
	ds_read2_b64 v[79:82], v117 offset1:13
	ds_read_b64 v[56:57], v117 offset:1456
	ds_read2_b64 v[130:133], v117 offset0:26 offset1:39
	v_lshl_add_u32 v126, v124, 3, v125
	s_waitcnt vmcnt(4) lgkmcnt(7)
	v_mul_f32_e32 v83, v61, v49
	v_mul_f32_e32 v115, v60, v49
	s_waitcnt lgkmcnt(6)
	v_mul_f32_e32 v116, v64, v51
	v_mul_f32_e32 v134, v63, v51
	s_waitcnt vmcnt(3) lgkmcnt(5)
	v_mul_f32_e32 v135, v68, v45
	v_mul_f32_e32 v136, v67, v45
	;; [unrolled: 1-line block ×4, first 2 shown]
	s_waitcnt vmcnt(2) lgkmcnt(4)
	v_mul_f32_e32 v141, v72, v43
	s_waitcnt vmcnt(1) lgkmcnt(3)
	v_mul_f32_e32 v143, v76, v37
	v_mul_f32_e32 v144, v75, v37
	;; [unrolled: 1-line block ×7, first 2 shown]
	s_waitcnt vmcnt(0)
	v_mul_f32_e32 v147, v78, v33
	v_mul_f32_e32 v148, v77, v33
	s_waitcnt lgkmcnt(1)
	v_mul_f32_e32 v149, v57, v35
	v_mul_f32_e32 v150, v56, v35
	v_fma_f32 v60, v60, v48, -v83
	v_fmac_f32_e32 v115, v61, v48
	v_fma_f32 v61, v63, v50, -v116
	v_fmac_f32_e32 v134, v64, v50
	;; [unrolled: 2-line block ×4, first 2 shown]
	v_fma_f32 v67, v71, v42, -v141
	v_fma_f32 v66, v75, v36, -v143
	v_fmac_f32_e32 v144, v76, v36
	v_fma_f32 v71, v73, v38, -v145
	v_fmac_f32_e32 v146, v74, v38
	;; [unrolled: 2-line block ×3, first 2 shown]
	v_fmac_f32_e32 v142, v72, v42
	v_fma_f32 v68, v77, v32, -v147
	v_fmac_f32_e32 v148, v78, v32
	v_fma_f32 v56, v56, v34, -v149
	v_fmac_f32_e32 v150, v57, v34
	v_add_f32_e32 v69, v60, v61
	v_add_f32_e32 v72, v115, v134
	;; [unrolled: 1-line block ×5, first 2 shown]
	v_sub_f32_e32 v145, v144, v146
	s_waitcnt lgkmcnt(0)
	v_add_f32_e32 v147, v133, v144
	v_add_f32_e32 v144, v144, v146
	;; [unrolled: 1-line block ×7, first 2 shown]
	v_sub_f32_e32 v153, v148, v150
	v_add_f32_e32 v154, v59, v148
	v_add_f32_e32 v148, v148, v150
	;; [unrolled: 1-line block ×8, first 2 shown]
	v_sub_f32_e32 v76, v115, v134
	v_sub_f32_e32 v77, v60, v61
	;; [unrolled: 1-line block ×6, first 2 shown]
	v_fma_f32 v63, -0.5, v69, v79
	v_fma_f32 v64, -0.5, v72, v80
	;; [unrolled: 1-line block ×3, first 2 shown]
	v_fmac_f32_e32 v82, -0.5, v83
	v_sub_f32_e32 v149, v66, v71
	v_fma_f32 v132, -0.5, v143, v132
	v_fmac_f32_e32 v133, -0.5, v144
	v_sub_f32_e32 v155, v68, v56
	v_add_f32_e32 v60, v57, v61
	v_add_f32_e32 v61, v70, v134
	v_fma_f32 v69, -0.5, v135, v130
	v_fma_f32 v70, -0.5, v139, v131
	;; [unrolled: 1-line block ×3, first 2 shown]
	v_fmac_f32_e32 v59, -0.5, v148
	v_add_f32_e32 v65, v73, v65
	v_add_f32_e32 v66, v75, v138
	;; [unrolled: 1-line block ×8, first 2 shown]
	v_fmamk_f32 v75, v76, 0x3f5db3d7, v63
	v_fmac_f32_e32 v63, 0xbf5db3d7, v76
	v_fmamk_f32 v76, v77, 0xbf5db3d7, v64
	v_fmac_f32_e32 v64, 0x3f5db3d7, v77
	;; [unrolled: 2-line block ×4, first 2 shown]
	v_fmamk_f32 v115, v145, 0x3f5db3d7, v132
	v_fmamk_f32 v116, v149, 0xbf5db3d7, v133
	;; [unrolled: 1-line block ×3, first 2 shown]
	v_fmac_f32_e32 v69, 0xbf5db3d7, v136
	v_fmamk_f32 v80, v140, 0xbf5db3d7, v70
	v_fmac_f32_e32 v70, 0x3f5db3d7, v140
	v_fmac_f32_e32 v132, 0xbf5db3d7, v145
	;; [unrolled: 1-line block ×3, first 2 shown]
	v_fmamk_f32 v56, v153, 0x3f5db3d7, v58
	v_fmac_f32_e32 v58, 0xbf5db3d7, v153
	v_fmamk_f32 v57, v155, 0xbf5db3d7, v59
	v_fmac_f32_e32 v59, 0x3f5db3d7, v155
	ds_write_b64 v117, v[60:61]
	ds_write2_b64 v126, v[65:66], v[67:68] offset0:13 offset1:26
	ds_write2_b64 v126, v[71:72], v[73:74] offset0:39 offset1:52
	;; [unrolled: 1-line block ×7, first 2 shown]
	s_waitcnt lgkmcnt(0)
	s_barrier
	buffer_gl0_inv
	s_clause 0xc
	global_load_dwordx2 v[60:61], v[84:85], off offset:1560
	global_load_dwordx2 v[115:116], v62, s[0:1] offset:120
	global_load_dwordx2 v[134:135], v62, s[0:1] offset:240
	;; [unrolled: 1-line block ×12, first 2 shown]
	ds_read2_b64 v[63:66], v117 offset1:15
	ds_read2_b64 v[67:70], v117 offset0:30 offset1:45
	ds_read2_b64 v[71:74], v117 offset0:60 offset1:75
	;; [unrolled: 1-line block ×5, first 2 shown]
	ds_read_b64 v[156:157], v117 offset:1440
	s_waitcnt vmcnt(12) lgkmcnt(6)
	v_mul_f32_e32 v158, v64, v61
	v_mul_f32_e32 v159, v63, v61
	s_waitcnt vmcnt(11)
	v_mul_f32_e32 v160, v66, v116
	v_mul_f32_e32 v61, v65, v116
	s_waitcnt vmcnt(10) lgkmcnt(5)
	v_mul_f32_e32 v161, v68, v135
	v_mul_f32_e32 v116, v67, v135
	s_waitcnt vmcnt(9)
	v_mul_f32_e32 v162, v70, v137
	v_mul_f32_e32 v135, v69, v137
	;; [unrolled: 6-line block ×6, first 2 shown]
	s_waitcnt vmcnt(0) lgkmcnt(0)
	v_mul_f32_e32 v153, v157, v155
	v_mul_f32_e32 v151, v156, v155
	v_fma_f32 v158, v63, v60, -v158
	v_fmac_f32_e32 v159, v64, v60
	v_fma_f32 v60, v65, v115, -v160
	v_fmac_f32_e32 v61, v66, v115
	v_fma_f32 v115, v67, v134, -v161
	v_fmac_f32_e32 v116, v68, v134
	v_fma_f32 v134, v69, v136, -v162
	v_fmac_f32_e32 v135, v70, v136
	v_fma_f32 v136, v71, v138, -v163
	v_fmac_f32_e32 v137, v72, v138
	v_fma_f32 v138, v73, v140, -v164
	v_fmac_f32_e32 v139, v74, v140
	v_fma_f32 v140, v75, v142, -v165
	v_fmac_f32_e32 v141, v76, v142
	v_fma_f32 v142, v77, v144, -v166
	v_fmac_f32_e32 v143, v78, v144
	v_fma_f32 v144, v79, v146, -v167
	v_fmac_f32_e32 v145, v80, v146
	v_fma_f32 v146, v81, v148, -v168
	v_fmac_f32_e32 v147, v82, v148
	v_fma_f32 v82, v130, v150, -v169
	v_fmac_f32_e32 v83, v131, v150
	v_fma_f32 v148, v132, v152, -v170
	v_fmac_f32_e32 v149, v133, v152
	v_fma_f32 v150, v156, v154, -v153
	v_fmac_f32_e32 v151, v157, v154
	ds_write2_b64 v117, v[158:159], v[60:61] offset1:15
	ds_write2_b64 v117, v[115:116], v[134:135] offset0:30 offset1:45
	ds_write2_b64 v117, v[136:137], v[138:139] offset0:60 offset1:75
	;; [unrolled: 1-line block ×5, first 2 shown]
	ds_write_b64 v117, v[150:151] offset:1440
	s_and_saveexec_b32 s2, vcc_lo
	s_cbranch_execz .LBB0_9
; %bb.8:
	v_add_co_u32 v60, s0, s0, v62
	v_add_co_ci_u32_e64 v61, null, s1, 0, s0
	s_clause 0xc
	global_load_dwordx2 v[62:63], v[60:61], off offset:104
	global_load_dwordx2 v[115:116], v[60:61], off offset:224
	;; [unrolled: 1-line block ×13, first 2 shown]
	ds_read_b64 v[60:61], v126 offset:104
	s_waitcnt vmcnt(12) lgkmcnt(0)
	v_mul_f32_e32 v65, v61, v63
	v_mul_f32_e32 v64, v60, v63
	v_fma_f32 v63, v60, v62, -v65
	v_fmac_f32_e32 v64, v61, v62
	ds_write_b64 v126, v[63:64] offset:104
	ds_read2_b64 v[60:63], v117 offset0:28 offset1:43
	ds_read2_b64 v[64:67], v117 offset0:58 offset1:73
	;; [unrolled: 1-line block ×6, first 2 shown]
	s_waitcnt vmcnt(11) lgkmcnt(5)
	v_mul_f32_e32 v153, v61, v116
	v_mul_f32_e32 v152, v60, v116
	s_waitcnt vmcnt(10)
	v_mul_f32_e32 v154, v63, v131
	v_mul_f32_e32 v116, v62, v131
	s_waitcnt vmcnt(9) lgkmcnt(4)
	v_mul_f32_e32 v155, v65, v133
	v_mul_f32_e32 v131, v64, v133
	s_waitcnt vmcnt(8)
	v_mul_f32_e32 v156, v67, v135
	v_mul_f32_e32 v133, v66, v135
	;; [unrolled: 6-line block ×6, first 2 shown]
	v_fma_f32 v151, v60, v115, -v153
	v_fmac_f32_e32 v152, v61, v115
	v_fma_f32 v115, v62, v130, -v154
	v_fmac_f32_e32 v116, v63, v130
	;; [unrolled: 2-line block ×12, first 2 shown]
	ds_write2_b64 v117, v[151:152], v[115:116] offset0:28 offset1:43
	ds_write2_b64 v117, v[130:131], v[132:133] offset0:58 offset1:73
	;; [unrolled: 1-line block ×6, first 2 shown]
.LBB0_9:
	s_or_b32 exec_lo, exec_lo, s2
	s_waitcnt lgkmcnt(0)
	s_barrier
	buffer_gl0_inv
	ds_read2_b64 v[80:83], v117 offset1:15
	ds_read2_b64 v[72:75], v117 offset0:30 offset1:45
	ds_read2_b64 v[64:67], v117 offset0:60 offset1:75
	ds_read2_b64 v[60:63], v117 offset0:90 offset1:105
	ds_read2_b64 v[68:71], v117 offset0:120 offset1:135
	ds_read2_b64 v[76:79], v117 offset0:150 offset1:165
	ds_read_b64 v[115:116], v117 offset:1440
	s_and_saveexec_b32 s0, vcc_lo
	s_cbranch_execz .LBB0_11
; %bb.10:
	ds_read2_b64 v[56:59], v126 offset0:13 offset1:28
	ds_read2_b64 v[4:7], v126 offset0:43 offset1:58
	;; [unrolled: 1-line block ×6, first 2 shown]
	ds_read_b64 v[113:114], v126 offset:1544
.LBB0_11:
	s_or_b32 exec_lo, exec_lo, s0
	s_waitcnt lgkmcnt(6)
	v_add_f32_e32 v132, v81, v83
	v_add_f32_e32 v131, v80, v82
	s_waitcnt lgkmcnt(0)
	v_sub_f32_e32 v134, v83, v116
	v_add_f32_e32 v135, v116, v83
	v_add_f32_e32 v133, v115, v82
	;; [unrolled: 1-line block ×4, first 2 shown]
	v_sub_f32_e32 v136, v82, v115
	v_sub_f32_e32 v154, v73, v79
	v_mul_f32_e32 v137, 0xbf52af12, v134
	v_add_f32_e32 v83, v132, v75
	v_add_f32_e32 v82, v131, v74
	v_mul_f32_e32 v131, 0xbeedf032, v134
	v_mul_f32_e32 v132, 0x3f62ad3f, v135
	;; [unrolled: 1-line block ×3, first 2 shown]
	v_add_f32_e32 v83, v83, v65
	v_add_f32_e32 v82, v82, v64
	v_mul_f32_e32 v139, 0xbf7e222b, v134
	v_mul_f32_e32 v140, 0x3df6dbef, v135
	;; [unrolled: 1-line block ×3, first 2 shown]
	v_add_f32_e32 v83, v83, v67
	v_add_f32_e32 v82, v82, v66
	v_fmamk_f32 v142, v133, 0x3f62ad3f, v131
	v_mul_f32_e32 v149, 0xbf29c268, v134
	v_mul_f32_e32 v150, 0xbf3f9e67, v135
	v_add_f32_e32 v83, v83, v61
	v_add_f32_e32 v82, v82, v60
	v_mul_f32_e32 v134, 0xbe750f2a, v134
	v_add_f32_e32 v156, v78, v72
	v_mul_f32_e32 v157, 0xbf52af12, v154
	v_add_f32_e32 v83, v83, v63
	v_add_f32_e32 v82, v82, v62
	v_add_f32_e32 v73, v79, v73
	v_fmamk_f32 v143, v136, 0x3eedf032, v132
	v_fma_f32 v131, 0x3f62ad3f, v133, -v131
	v_add_f32_e32 v83, v83, v69
	v_add_f32_e32 v82, v82, v68
	v_fmac_f32_e32 v132, 0xbeedf032, v136
	v_fmamk_f32 v144, v133, 0x3f116cb1, v137
	v_fmamk_f32 v145, v136, 0x3f52af12, v138
	v_add_f32_e32 v83, v83, v71
	v_add_f32_e32 v82, v82, v70
	v_fma_f32 v137, 0x3f116cb1, v133, -v137
	v_fmac_f32_e32 v138, 0xbf52af12, v136
	v_fmamk_f32 v146, v133, 0x3df6dbef, v139
	v_add_f32_e32 v83, v83, v77
	v_add_f32_e32 v82, v82, v76
	v_fmamk_f32 v147, v136, 0x3f7e222b, v140
	v_fma_f32 v139, 0x3df6dbef, v133, -v139
	v_add_f32_e32 v142, v80, v142
	v_add_f32_e32 v83, v83, v79
	;; [unrolled: 1-line block ×3, first 2 shown]
	v_fmac_f32_e32 v140, 0xbf7e222b, v136
	v_fmamk_f32 v151, v133, 0xbf3f9e67, v149
	v_fmamk_f32 v152, v136, 0x3f29c268, v150
	v_add_f32_e32 v83, v83, v116
	v_mul_f32_e32 v116, 0xbeb58ec6, v135
	v_mul_f32_e32 v135, 0xbf788fa5, v135
	v_add_f32_e32 v82, v82, v115
	v_fmamk_f32 v115, v133, 0xbeb58ec6, v141
	v_fma_f32 v141, 0xbeb58ec6, v133, -v141
	v_fmamk_f32 v148, v136, 0x3f6f5d39, v116
	v_fmac_f32_e32 v116, 0xbf6f5d39, v136
	v_fma_f32 v149, 0xbf3f9e67, v133, -v149
	v_fmac_f32_e32 v150, 0xbf29c268, v136
	v_fmamk_f32 v153, v133, 0xbf788fa5, v134
	v_fmamk_f32 v155, v136, 0x3e750f2a, v135
	v_fma_f32 v79, 0xbf788fa5, v133, -v134
	v_fmac_f32_e32 v135, 0xbe750f2a, v136
	v_sub_f32_e32 v72, v72, v78
	v_fmamk_f32 v78, v156, 0x3f116cb1, v157
	v_mul_f32_e32 v133, 0x3f116cb1, v73
	v_add_f32_e32 v143, v81, v143
	v_add_f32_e32 v131, v80, v131
	;; [unrolled: 1-line block ×24, first 2 shown]
	v_fmamk_f32 v81, v72, 0x3f52af12, v133
	v_mul_f32_e32 v135, 0xbf6f5d39, v154
	v_fma_f32 v136, 0x3f116cb1, v156, -v157
	v_fmac_f32_e32 v133, 0xbf52af12, v72
	v_mul_f32_e32 v142, 0xbeb58ec6, v73
	v_add_f32_e32 v81, v81, v143
	v_fmamk_f32 v143, v156, 0xbeb58ec6, v135
	v_add_f32_e32 v131, v136, v131
	v_add_f32_e32 v132, v133, v132
	v_fmamk_f32 v133, v72, 0x3f6f5d39, v142
	v_mul_f32_e32 v136, 0xbe750f2a, v154
	v_add_f32_e32 v143, v143, v144
	v_fma_f32 v135, 0xbeb58ec6, v156, -v135
	v_fmac_f32_e32 v142, 0xbf6f5d39, v72
	v_add_f32_e32 v133, v133, v145
	v_fmamk_f32 v144, v156, 0xbf788fa5, v136
	v_mul_f32_e32 v145, 0xbf788fa5, v73
	v_add_f32_e32 v135, v135, v137
	v_add_f32_e32 v137, v142, v138
	v_mul_f32_e32 v138, 0x3f29c268, v154
	v_add_f32_e32 v142, v144, v146
	v_fmamk_f32 v144, v72, 0x3e750f2a, v145
	v_fma_f32 v136, 0xbf788fa5, v156, -v136
	v_fmac_f32_e32 v145, 0xbe750f2a, v72
	v_mul_f32_e32 v155, 0xbf3f9e67, v73
	v_fmamk_f32 v146, v156, 0xbf3f9e67, v138
	v_add_f32_e32 v144, v144, v147
	v_add_f32_e32 v136, v136, v139
	;; [unrolled: 1-line block ×3, first 2 shown]
	v_fmamk_f32 v140, v72, 0xbf29c268, v155
	v_mul_f32_e32 v145, 0x3f7e222b, v154
	v_add_f32_e32 v115, v146, v115
	v_fma_f32 v138, 0xbf3f9e67, v156, -v138
	v_mul_f32_e32 v146, 0x3df6dbef, v73
	v_add_f32_e32 v140, v140, v148
	v_fmamk_f32 v147, v156, 0x3df6dbef, v145
	v_mul_f32_e32 v148, 0x3eedf032, v154
	v_fma_f32 v145, 0x3df6dbef, v156, -v145
	v_add_f32_e32 v138, v138, v141
	v_fmamk_f32 v141, v72, 0xbf7e222b, v146
	v_add_f32_e32 v147, v147, v151
	v_fmac_f32_e32 v146, 0x3f7e222b, v72
	v_fmamk_f32 v151, v156, 0x3f62ad3f, v148
	v_add_f32_e32 v145, v145, v149
	v_sub_f32_e32 v149, v75, v77
	v_add_f32_e32 v141, v141, v152
	v_mul_f32_e32 v73, 0x3f62ad3f, v73
	v_add_f32_e32 v146, v146, v150
	v_add_f32_e32 v150, v151, v153
	;; [unrolled: 1-line block ×3, first 2 shown]
	v_mul_f32_e32 v153, 0xbf7e222b, v149
	v_add_f32_e32 v75, v77, v75
	v_fmac_f32_e32 v155, 0x3f29c268, v72
	v_fmamk_f32 v151, v72, 0xbeedf032, v73
	v_fma_f32 v77, 0x3f62ad3f, v156, -v148
	v_fmac_f32_e32 v73, 0x3eedf032, v72
	v_sub_f32_e32 v72, v74, v76
	v_fmamk_f32 v74, v152, 0x3df6dbef, v153
	v_mul_f32_e32 v76, 0x3df6dbef, v75
	v_add_f32_e32 v77, v77, v79
	v_add_f32_e32 v73, v73, v80
	v_mul_f32_e32 v79, 0xbe750f2a, v149
	v_add_f32_e32 v74, v74, v78
	v_fmamk_f32 v78, v72, 0x3f7e222b, v76
	v_fma_f32 v80, 0x3df6dbef, v152, -v153
	v_fmac_f32_e32 v76, 0xbf7e222b, v72
	v_mul_f32_e32 v148, 0xbf788fa5, v75
	v_add_f32_e32 v134, v151, v134
	v_add_f32_e32 v78, v78, v81
	v_fmamk_f32 v81, v152, 0xbf788fa5, v79
	v_add_f32_e32 v80, v80, v131
	v_add_f32_e32 v76, v76, v132
	v_fmamk_f32 v131, v72, 0x3e750f2a, v148
	v_mul_f32_e32 v132, 0x3f6f5d39, v149
	v_add_f32_e32 v81, v81, v143
	v_mul_f32_e32 v143, 0xbeb58ec6, v75
	v_mul_f32_e32 v151, 0x3f62ad3f, v75
	v_add_f32_e32 v131, v131, v133
	v_fmamk_f32 v133, v152, 0xbeb58ec6, v132
	v_fma_f32 v132, 0xbeb58ec6, v152, -v132
	v_fma_f32 v79, 0xbf788fa5, v152, -v79
	v_fmac_f32_e32 v148, 0xbe750f2a, v72
	v_add_f32_e32 v116, v155, v116
	v_add_f32_e32 v133, v133, v142
	v_fmamk_f32 v142, v72, 0xbf6f5d39, v143
	v_fmac_f32_e32 v143, 0x3f6f5d39, v72
	v_add_f32_e32 v132, v132, v136
	v_add_f32_e32 v79, v79, v135
	;; [unrolled: 1-line block ×3, first 2 shown]
	v_mul_f32_e32 v137, 0x3eedf032, v149
	v_add_f32_e32 v136, v143, v139
	v_fmamk_f32 v139, v72, 0xbeedf032, v151
	v_mul_f32_e32 v143, 0xbf52af12, v149
	v_add_f32_e32 v142, v142, v144
	v_fmamk_f32 v148, v152, 0x3f62ad3f, v137
	v_fma_f32 v137, 0x3f62ad3f, v152, -v137
	v_add_f32_e32 v139, v139, v140
	v_fmamk_f32 v140, v152, 0x3f116cb1, v143
	v_fma_f32 v143, 0x3f116cb1, v152, -v143
	v_mul_f32_e32 v144, 0x3f116cb1, v75
	v_add_f32_e32 v115, v148, v115
	v_add_f32_e32 v137, v137, v138
	v_mul_f32_e32 v148, 0xbf29c268, v149
	v_add_f32_e32 v143, v143, v145
	v_sub_f32_e32 v145, v65, v71
	v_fmamk_f32 v138, v72, 0x3f52af12, v144
	v_add_f32_e32 v140, v140, v147
	v_fmac_f32_e32 v144, 0xbf52af12, v72
	v_mul_f32_e32 v75, 0xbf3f9e67, v75
	v_add_f32_e32 v147, v70, v64
	v_mul_f32_e32 v149, 0xbf6f5d39, v145
	v_add_f32_e32 v65, v71, v65
	v_fmac_f32_e32 v151, 0x3eedf032, v72
	v_add_f32_e32 v144, v144, v146
	v_fmamk_f32 v146, v72, 0x3f29c268, v75
	v_fma_f32 v71, 0xbf3f9e67, v152, -v148
	v_fmac_f32_e32 v75, 0xbf29c268, v72
	v_sub_f32_e32 v64, v64, v70
	v_fmamk_f32 v70, v147, 0xbeb58ec6, v149
	v_mul_f32_e32 v72, 0xbeb58ec6, v65
	v_add_f32_e32 v134, v146, v134
	v_add_f32_e32 v71, v71, v77
	;; [unrolled: 1-line block ×4, first 2 shown]
	v_fmamk_f32 v74, v64, 0x3f6f5d39, v72
	v_mul_f32_e32 v75, 0x3f29c268, v145
	v_fma_f32 v77, 0xbeb58ec6, v147, -v149
	v_fmac_f32_e32 v72, 0xbf6f5d39, v64
	v_mul_f32_e32 v146, 0xbf3f9e67, v65
	v_add_f32_e32 v74, v74, v78
	v_fmamk_f32 v78, v147, 0xbf3f9e67, v75
	v_add_f32_e32 v77, v77, v80
	v_add_f32_e32 v72, v72, v76
	v_fmamk_f32 v76, v64, 0xbf29c268, v146
	v_mul_f32_e32 v80, 0x3eedf032, v145
	v_add_f32_e32 v78, v78, v81
	v_add_f32_e32 v138, v138, v141
	v_fmamk_f32 v141, v152, 0xbf3f9e67, v148
	v_add_f32_e32 v76, v76, v131
	v_fmamk_f32 v81, v147, 0x3f62ad3f, v80
	v_mul_f32_e32 v131, 0x3f62ad3f, v65
	v_fma_f32 v75, 0xbf3f9e67, v147, -v75
	v_fmac_f32_e32 v146, 0x3f29c268, v64
	v_fma_f32 v80, 0x3f62ad3f, v147, -v80
	v_add_f32_e32 v81, v81, v133
	v_fmamk_f32 v133, v64, 0xbeedf032, v131
	v_fmac_f32_e32 v131, 0x3eedf032, v64
	v_mul_f32_e32 v148, 0x3df6dbef, v65
	v_add_f32_e32 v75, v75, v79
	v_add_f32_e32 v79, v146, v135
	v_mul_f32_e32 v135, 0xbf7e222b, v145
	v_add_f32_e32 v80, v80, v132
	v_add_f32_e32 v131, v131, v136
	v_fmamk_f32 v132, v64, 0x3f7e222b, v148
	v_mul_f32_e32 v136, 0x3e750f2a, v145
	v_fmamk_f32 v146, v147, 0x3df6dbef, v135
	v_add_f32_e32 v133, v133, v142
	v_fma_f32 v135, 0x3df6dbef, v147, -v135
	v_mul_f32_e32 v142, 0xbf788fa5, v65
	v_add_f32_e32 v132, v132, v139
	v_fmamk_f32 v139, v147, 0xbf788fa5, v136
	v_mul_f32_e32 v145, 0x3f52af12, v145
	v_add_f32_e32 v135, v135, v137
	v_fmamk_f32 v137, v64, 0xbe750f2a, v142
	v_fma_f32 v136, 0xbf788fa5, v147, -v136
	v_add_f32_e32 v139, v139, v140
	v_fmac_f32_e32 v142, 0x3e750f2a, v64
	v_sub_f32_e32 v140, v67, v69
	v_add_f32_e32 v141, v141, v150
	v_add_f32_e32 v137, v137, v138
	v_fmamk_f32 v138, v147, 0x3f116cb1, v145
	v_mul_f32_e32 v65, 0x3f116cb1, v65
	v_add_f32_e32 v136, v136, v143
	v_add_f32_e32 v142, v142, v144
	;; [unrolled: 1-line block ×3, first 2 shown]
	v_mul_f32_e32 v144, 0xbf29c268, v140
	v_add_f32_e32 v67, v69, v67
	v_fmac_f32_e32 v148, 0xbf7e222b, v64
	v_add_f32_e32 v138, v138, v141
	v_fmamk_f32 v141, v64, 0xbf52af12, v65
	v_fma_f32 v69, 0x3f116cb1, v147, -v145
	v_fmac_f32_e32 v65, 0x3f52af12, v64
	v_sub_f32_e32 v64, v66, v68
	v_fmamk_f32 v66, v143, 0xbf3f9e67, v144
	v_mul_f32_e32 v68, 0xbf3f9e67, v67
	v_add_f32_e32 v134, v141, v134
	v_add_f32_e32 v69, v69, v71
	;; [unrolled: 1-line block ×4, first 2 shown]
	v_fmamk_f32 v70, v64, 0x3f29c268, v68
	v_mul_f32_e32 v71, 0x3f7e222b, v140
	v_fma_f32 v73, 0xbf3f9e67, v143, -v144
	v_fmac_f32_e32 v68, 0xbf29c268, v64
	v_mul_f32_e32 v141, 0x3df6dbef, v67
	v_add_f32_e32 v70, v70, v74
	v_fmamk_f32 v74, v143, 0x3df6dbef, v71
	v_add_f32_e32 v73, v73, v77
	v_add_f32_e32 v68, v68, v72
	v_fmamk_f32 v72, v64, 0xbf7e222b, v141
	v_mul_f32_e32 v77, 0xbf52af12, v140
	v_fma_f32 v71, 0x3df6dbef, v143, -v71
	v_fmac_f32_e32 v141, 0x3f7e222b, v64
	v_add_f32_e32 v74, v74, v78
	v_add_f32_e32 v72, v72, v76
	v_fmamk_f32 v76, v143, 0x3f116cb1, v77
	v_mul_f32_e32 v78, 0x3f116cb1, v67
	v_add_f32_e32 v71, v71, v75
	v_add_f32_e32 v75, v141, v79
	v_mul_f32_e32 v79, 0x3e750f2a, v140
	v_add_f32_e32 v115, v146, v115
	v_add_f32_e32 v76, v76, v81
	v_fmamk_f32 v81, v64, 0x3f52af12, v78
	v_fma_f32 v77, 0x3f116cb1, v143, -v77
	v_fmac_f32_e32 v78, 0xbf52af12, v64
	v_fmamk_f32 v141, v143, 0xbf788fa5, v79
	v_mul_f32_e32 v144, 0xbf788fa5, v67
	v_add_f32_e32 v81, v81, v133
	v_add_f32_e32 v77, v77, v80
	;; [unrolled: 1-line block ×4, first 2 shown]
	v_fmamk_f32 v115, v64, 0xbe750f2a, v144
	v_mul_f32_e32 v131, 0x3eedf032, v140
	v_fma_f32 v79, 0xbf788fa5, v143, -v79
	v_mul_f32_e32 v133, 0x3f62ad3f, v67
	v_mul_f32_e32 v140, 0xbf6f5d39, v140
	v_add_f32_e32 v115, v115, v132
	v_fmamk_f32 v132, v143, 0x3f62ad3f, v131
	v_add_f32_e32 v79, v79, v135
	v_fmamk_f32 v135, v64, 0xbeedf032, v133
	v_fma_f32 v131, 0x3f62ad3f, v143, -v131
	v_fmac_f32_e32 v133, 0x3eedf032, v64
	v_mul_f32_e32 v67, 0xbeb58ec6, v67
	v_add_f32_e32 v132, v132, v139
	v_add_f32_e32 v135, v135, v137
	v_fmamk_f32 v137, v143, 0xbeb58ec6, v140
	v_add_f32_e32 v131, v131, v136
	v_sub_f32_e32 v136, v61, v63
	v_add_f32_e32 v133, v133, v142
	v_add_f32_e32 v139, v62, v60
	;; [unrolled: 1-line block ×3, first 2 shown]
	v_fmamk_f32 v138, v64, 0x3f6f5d39, v67
	v_mul_f32_e32 v141, 0xbe750f2a, v136
	v_add_f32_e32 v142, v63, v61
	v_fmac_f32_e32 v67, 0xbf6f5d39, v64
	v_fma_f32 v61, 0xbeb58ec6, v143, -v140
	v_sub_f32_e32 v140, v60, v62
	v_fmamk_f32 v60, v139, 0xbf788fa5, v141
	v_mul_f32_e32 v63, 0xbf788fa5, v142
	v_add_f32_e32 v143, v67, v65
	v_mul_f32_e32 v67, 0x3f62ad3f, v142
	v_add_f32_e32 v134, v138, v134
	v_add_f32_e32 v138, v61, v69
	;; [unrolled: 1-line block ×3, first 2 shown]
	v_fmamk_f32 v61, v140, 0x3e750f2a, v63
	v_mul_f32_e32 v65, 0x3eedf032, v136
	v_fma_f32 v62, 0xbf788fa5, v139, -v141
	v_fmac_f32_e32 v63, 0xbe750f2a, v140
	v_fmamk_f32 v66, v140, 0xbeedf032, v67
	v_mul_f32_e32 v69, 0xbf29c268, v136
	v_add_f32_e32 v116, v151, v116
	v_fmac_f32_e32 v144, 0x3e750f2a, v64
	v_add_f32_e32 v61, v61, v70
	v_fmamk_f32 v64, v139, 0x3f62ad3f, v65
	v_add_f32_e32 v62, v62, v73
	v_add_f32_e32 v63, v63, v68
	v_fma_f32 v68, 0x3f62ad3f, v139, -v65
	v_fmac_f32_e32 v67, 0x3eedf032, v140
	v_add_f32_e32 v65, v66, v72
	v_fmamk_f32 v70, v139, 0xbf3f9e67, v69
	v_mul_f32_e32 v72, 0xbf3f9e67, v142
	v_mul_f32_e32 v73, 0x3f52af12, v136
	v_add_f32_e32 v116, v148, v116
	v_add_f32_e32 v64, v64, v74
	;; [unrolled: 1-line block ×5, first 2 shown]
	v_fmamk_f32 v70, v140, 0x3f29c268, v72
	v_fma_f32 v71, 0xbf3f9e67, v139, -v69
	v_fmac_f32_e32 v72, 0xbf29c268, v140
	v_fmamk_f32 v74, v139, 0x3f116cb1, v73
	v_mul_f32_e32 v75, 0x3f116cb1, v142
	v_add_f32_e32 v116, v144, v116
	v_add_f32_e32 v69, v70, v81
	;; [unrolled: 1-line block ×5, first 2 shown]
	v_fmamk_f32 v74, v140, 0xbf52af12, v75
	v_mul_f32_e32 v76, 0xbf6f5d39, v136
	v_fma_f32 v77, 0x3f116cb1, v139, -v73
	v_fmac_f32_e32 v75, 0x3f52af12, v140
	v_mul_f32_e32 v80, 0xbeb58ec6, v142
	v_add_f32_e32 v73, v74, v115
	v_fmamk_f32 v78, v139, 0xbeb58ec6, v76
	v_add_f32_e32 v74, v77, v79
	v_add_f32_e32 v75, v75, v116
	v_fma_f32 v79, 0xbeb58ec6, v139, -v76
	v_mul_f32_e32 v81, 0x3f7e222b, v136
	v_mul_f32_e32 v116, 0x3df6dbef, v142
	v_fmamk_f32 v77, v140, 0x3f6f5d39, v80
	v_add_f32_e32 v76, v78, v132
	v_add_f32_e32 v78, v79, v131
	v_fmac_f32_e32 v80, 0xbf6f5d39, v140
	v_fmamk_f32 v115, v139, 0x3df6dbef, v81
	v_fmamk_f32 v131, v140, 0xbf7e222b, v116
	v_fma_f32 v132, 0x3df6dbef, v139, -v81
	v_fmac_f32_e32 v116, 0x3f7e222b, v140
	v_add_nc_u32_e32 v130, 0x1a0, v117
	v_add_f32_e32 v77, v77, v135
	v_add_f32_e32 v79, v80, v133
	;; [unrolled: 1-line block ×6, first 2 shown]
	s_barrier
	buffer_gl0_inv
	ds_write2_b64 v129, v[82:83], v[60:61] offset1:1
	ds_write2_b64 v129, v[64:65], v[68:69] offset0:2 offset1:3
	ds_write2_b64 v129, v[72:73], v[76:77] offset0:4 offset1:5
	;; [unrolled: 1-line block ×5, first 2 shown]
	ds_write_b64 v129, v[62:63] offset:96
	s_and_saveexec_b32 s0, vcc_lo
	s_cbranch_execz .LBB0_13
; %bb.12:
	v_add_f32_e32 v80, v114, v59
	v_sub_f32_e32 v70, v58, v113
	v_add_f32_e32 v81, v3, v5
	v_sub_f32_e32 v67, v4, v2
	v_add_f32_e32 v82, v1, v7
	v_mul_f32_e32 v83, 0xbf788fa5, v80
	v_sub_f32_e32 v68, v6, v0
	v_mul_f32_e32 v116, 0x3f62ad3f, v81
	v_add_f32_e32 v115, v31, v21
	v_mul_f32_e32 v131, 0xbf3f9e67, v82
	v_fmamk_f32 v60, v70, 0x3e750f2a, v83
	v_sub_f32_e32 v132, v59, v114
	v_fmamk_f32 v61, v67, 0xbeedf032, v116
	v_sub_f32_e32 v66, v20, v30
	v_add_f32_e32 v71, v113, v58
	v_add_f32_e32 v60, v57, v60
	v_mul_f32_e32 v133, 0x3f116cb1, v115
	v_fmamk_f32 v62, v68, 0x3f29c268, v131
	v_mul_f32_e32 v134, 0xbe750f2a, v132
	v_sub_f32_e32 v135, v5, v3
	v_add_f32_e32 v60, v61, v60
	v_add_f32_e32 v72, v2, v4
	v_fmamk_f32 v61, v66, 0xbf52af12, v133
	v_sub_f32_e32 v137, v7, v1
	v_mul_f32_e32 v136, 0x3eedf032, v135
	v_add_f32_e32 v60, v62, v60
	v_fmamk_f32 v62, v71, 0xbf788fa5, v134
	v_add_f32_e32 v129, v29, v23
	v_add_f32_e32 v73, v0, v6
	v_mul_f32_e32 v139, 0xbf29c268, v137
	v_add_f32_e32 v60, v61, v60
	v_add_f32_e32 v61, v56, v62
	v_fmamk_f32 v62, v72, 0x3f62ad3f, v136
	v_sub_f32_e32 v140, v21, v31
	v_sub_f32_e32 v69, v22, v28
	v_mul_f32_e32 v138, 0xbeb58ec6, v129
	v_add_f32_e32 v141, v55, v53
	v_add_f32_e32 v61, v62, v61
	v_fmamk_f32 v62, v73, 0xbf3f9e67, v139
	v_add_f32_e32 v75, v30, v20
	v_mul_f32_e32 v142, 0x3f52af12, v140
	v_sub_f32_e32 v144, v23, v29
	v_fmamk_f32 v63, v69, 0x3f6f5d39, v138
	v_mul_f32_e32 v143, 0x3df6dbef, v141
	v_sub_f32_e32 v74, v52, v54
	v_add_f32_e32 v61, v62, v61
	v_fmamk_f32 v62, v75, 0x3f116cb1, v142
	v_add_f32_e32 v76, v28, v22
	v_mul_f32_e32 v145, 0xbf6f5d39, v144
	v_mul_f32_e32 v146, 0xbf3f9e67, v80
	v_add_f32_e32 v60, v63, v60
	v_fmamk_f32 v63, v74, 0xbf7e222b, v143
	v_add_f32_e32 v62, v62, v61
	v_fmamk_f32 v64, v76, 0xbeb58ec6, v145
	v_fmamk_f32 v65, v70, 0x3f29c268, v146
	v_mul_f32_e32 v147, 0x3df6dbef, v81
	v_add_f32_e32 v61, v63, v60
	v_sub_f32_e32 v148, v53, v55
	v_add_f32_e32 v60, v64, v62
	v_add_f32_e32 v62, v57, v65
	v_fmamk_f32 v63, v67, 0xbf7e222b, v147
	v_mul_f32_e32 v149, 0x3f116cb1, v82
	v_mul_f32_e32 v151, 0xbf29c268, v132
	v_add_f32_e32 v77, v54, v52
	v_mul_f32_e32 v150, 0x3f7e222b, v148
	v_add_f32_e32 v62, v63, v62
	v_fmamk_f32 v63, v68, 0x3f52af12, v149
	v_mul_f32_e32 v152, 0xbf788fa5, v115
	v_fmamk_f32 v65, v71, 0xbf3f9e67, v151
	v_mul_f32_e32 v153, 0x3f7e222b, v135
	v_fmamk_f32 v64, v77, 0x3df6dbef, v150
	v_add_f32_e32 v62, v63, v62
	v_fmamk_f32 v63, v66, 0xbe750f2a, v152
	v_mul_f32_e32 v154, 0x3f62ad3f, v129
	v_add_f32_e32 v65, v56, v65
	v_fmamk_f32 v78, v72, 0x3df6dbef, v153
	v_mul_f32_e32 v155, 0xbf52af12, v137
	v_add_f32_e32 v62, v63, v62
	v_fmamk_f32 v63, v69, 0xbeedf032, v154
	v_add_f32_e32 v60, v64, v60
	v_add_f32_e32 v64, v78, v65
	v_fmamk_f32 v65, v73, 0x3f116cb1, v155
	v_mul_f32_e32 v156, 0x3e750f2a, v140
	v_mul_f32_e32 v157, 0xbeb58ec6, v141
	v_mul_f32_e32 v158, 0xbeb58ec6, v80
	v_add_f32_e32 v62, v63, v62
	v_add_f32_e32 v63, v65, v64
	v_fmamk_f32 v64, v75, 0xbf788fa5, v156
	v_fmamk_f32 v65, v74, 0x3f6f5d39, v157
	;; [unrolled: 1-line block ×3, first 2 shown]
	v_mul_f32_e32 v160, 0xbf3f9e67, v81
	v_mul_f32_e32 v159, 0x3eedf032, v144
	v_add_f32_e32 v64, v64, v63
	v_add_f32_e32 v63, v65, v62
	;; [unrolled: 1-line block ×3, first 2 shown]
	v_fmamk_f32 v65, v67, 0xbf29c268, v160
	v_mul_f32_e32 v161, 0x3f62ad3f, v82
	v_fmamk_f32 v79, v76, 0x3f62ad3f, v159
	v_mul_f32_e32 v163, 0xbf6f5d39, v132
	v_mul_f32_e32 v164, 0x3df6dbef, v115
	v_add_f32_e32 v62, v65, v62
	v_fmamk_f32 v65, v68, 0xbeedf032, v161
	v_add_f32_e32 v64, v79, v64
	v_mul_f32_e32 v162, 0xbf6f5d39, v148
	v_fmamk_f32 v79, v71, 0xbeb58ec6, v163
	v_mul_f32_e32 v165, 0x3f29c268, v135
	v_add_f32_e32 v62, v65, v62
	v_fmamk_f32 v65, v66, 0x3f7e222b, v164
	v_mul_f32_e32 v166, 0xbf788fa5, v129
	v_fmamk_f32 v78, v77, 0xbeb58ec6, v162
	v_add_f32_e32 v79, v56, v79
	v_fmamk_f32 v167, v72, 0xbf3f9e67, v165
	v_mul_f32_e32 v168, 0x3eedf032, v137
	v_add_f32_e32 v65, v65, v62
	v_fmamk_f32 v169, v69, 0xbe750f2a, v166
	v_add_f32_e32 v62, v78, v64
	v_add_f32_e32 v64, v167, v79
	v_fmamk_f32 v78, v73, 0x3f62ad3f, v168
	v_mul_f32_e32 v167, 0xbf7e222b, v140
	v_add_f32_e32 v65, v169, v65
	v_mul_f32_e32 v169, 0x3f116cb1, v141
	v_mul_f32_e32 v170, 0x3df6dbef, v80
	v_add_f32_e32 v64, v78, v64
	v_fmamk_f32 v78, v75, 0x3df6dbef, v167
	v_mul_f32_e32 v171, 0x3e750f2a, v144
	v_fmamk_f32 v79, v74, 0xbf52af12, v169
	v_fmamk_f32 v172, v70, 0x3f7e222b, v170
	v_mul_f32_e32 v173, 0xbf788fa5, v81
	v_add_f32_e32 v64, v78, v64
	v_fmamk_f32 v78, v76, 0xbf788fa5, v171
	v_add_f32_e32 v65, v79, v65
	v_add_f32_e32 v79, v57, v172
	v_fmamk_f32 v172, v67, 0x3e750f2a, v173
	v_mul_f32_e32 v174, 0xbeb58ec6, v82
	v_mul_f32_e32 v176, 0xbf7e222b, v132
	v_add_f32_e32 v64, v78, v64
	v_mul_f32_e32 v175, 0x3f52af12, v148
	v_add_f32_e32 v78, v172, v79
	v_fmamk_f32 v79, v68, 0xbf6f5d39, v174
	v_mul_f32_e32 v172, 0x3f62ad3f, v115
	v_fmamk_f32 v178, v71, 0x3df6dbef, v176
	v_mul_f32_e32 v179, 0xbe750f2a, v135
	v_fmamk_f32 v177, v77, 0x3f116cb1, v175
	v_add_f32_e32 v78, v79, v78
	v_fmamk_f32 v79, v66, 0xbeedf032, v172
	v_mul_f32_e32 v180, 0x3f116cb1, v129
	v_add_f32_e32 v178, v56, v178
	v_fmamk_f32 v181, v72, 0xbf788fa5, v179
	v_mul_f32_e32 v182, 0x3f6f5d39, v137
	v_add_f32_e32 v78, v79, v78
	v_fmamk_f32 v79, v69, 0x3f52af12, v180
	v_add_f32_e32 v64, v177, v64
	v_add_f32_e32 v177, v181, v178
	v_fmamk_f32 v178, v73, 0xbeb58ec6, v182
	v_mul_f32_e32 v181, 0x3eedf032, v140
	v_mul_f32_e32 v183, 0xbf3f9e67, v141
	;; [unrolled: 1-line block ×3, first 2 shown]
	v_add_f32_e32 v78, v79, v78
	v_add_f32_e32 v79, v178, v177
	v_fmamk_f32 v177, v75, 0x3f62ad3f, v181
	v_fmamk_f32 v185, v74, 0x3f29c268, v183
	;; [unrolled: 1-line block ×3, first 2 shown]
	v_mul_f32_e32 v187, 0xbeb58ec6, v81
	v_mul_f32_e32 v178, 0xbf52af12, v144
	v_add_f32_e32 v177, v177, v79
	v_add_f32_e32 v79, v185, v78
	v_add_f32_e32 v78, v57, v186
	v_fmamk_f32 v185, v67, 0x3f6f5d39, v187
	v_mul_f32_e32 v186, 0xbf788fa5, v82
	v_fmamk_f32 v188, v76, 0x3f116cb1, v178
	v_mul_f32_e32 v189, 0xbf52af12, v132
	v_mul_f32_e32 v190, 0xbf3f9e67, v115
	v_add_f32_e32 v78, v185, v78
	v_fmamk_f32 v185, v68, 0x3e750f2a, v186
	v_add_f32_e32 v177, v188, v177
	v_mul_f32_e32 v188, 0xbf29c268, v148
	v_fmamk_f32 v192, v71, 0x3f116cb1, v189
	v_mul_f32_e32 v193, 0xbf6f5d39, v135
	v_add_f32_e32 v78, v185, v78
	v_fmamk_f32 v185, v66, 0xbf29c268, v190
	v_mul_f32_e32 v194, 0x3df6dbef, v129
	v_fmamk_f32 v191, v77, 0xbf3f9e67, v188
	v_add_f32_e32 v192, v56, v192
	v_fmamk_f32 v195, v72, 0xbeb58ec6, v193
	v_add_f32_e32 v185, v185, v78
	;; [unrolled: 2-line block ×3, first 2 shown]
	v_add_f32_e32 v59, v59, v57
	v_add_f32_e32 v177, v195, v192
	v_mul_f32_e32 v195, 0x3f62ad3f, v141
	v_add_f32_e32 v185, v197, v185
	v_mul_f32_e32 v197, 0x3f62ad3f, v80
	v_mul_f32_e32 v200, 0x3f116cb1, v81
	v_add_f32_e32 v5, v5, v59
	v_fmamk_f32 v198, v74, 0xbeedf032, v195
	v_add_f32_e32 v58, v58, v56
	v_fmamk_f32 v199, v70, 0x3eedf032, v197
	v_mul_f32_e32 v82, 0x3df6dbef, v82
	v_add_f32_e32 v5, v7, v5
	v_add_f32_e32 v81, v198, v185
	v_fmamk_f32 v198, v67, 0x3f52af12, v200
	v_add_f32_e32 v185, v57, v199
	v_add_f32_e32 v4, v4, v58
	v_mul_f32_e32 v115, 0xbeb58ec6, v115
	v_add_f32_e32 v5, v21, v5
	v_mul_f32_e32 v132, 0xbeedf032, v132
	v_add_f32_e32 v185, v198, v185
	v_fmamk_f32 v198, v68, 0x3f7e222b, v82
	v_add_f32_e32 v4, v6, v4
	v_add_f32_e32 v5, v23, v5
	v_fmamk_f32 v58, v71, 0x3f62ad3f, v132
	v_mul_f32_e32 v129, 0xbf3f9e67, v129
	v_add_f32_e32 v59, v198, v185
	v_fmamk_f32 v185, v66, 0x3f6f5d39, v115
	v_add_f32_e32 v4, v20, v4
	v_add_f32_e32 v5, v53, v5
	;; [unrolled: 1-line block ×3, first 2 shown]
	v_mul_f32_e32 v58, 0xbf7e222b, v137
	v_add_f32_e32 v7, v185, v59
	v_mul_f32_e32 v59, 0xbf52af12, v135
	v_add_f32_e32 v4, v22, v4
	v_add_f32_e32 v5, v55, v5
	v_mul_f32_e32 v53, 0xbf6f5d39, v140
	v_fmamk_f32 v21, v69, 0x3f29c268, v129
	v_fmamk_f32 v20, v72, 0x3f116cb1, v59
	v_add_f32_e32 v4, v52, v4
	v_add_f32_e32 v5, v29, v5
	v_mul_f32_e32 v29, 0xbf29c268, v144
	v_mul_f32_e32 v52, 0xbf788fa5, v141
	v_add_f32_e32 v6, v20, v6
	v_fmamk_f32 v20, v73, 0x3df6dbef, v58
	v_add_f32_e32 v4, v54, v4
	v_add_f32_e32 v5, v31, v5
	v_fmac_f32_e32 v83, 0xbe750f2a, v70
	v_add_f32_e32 v7, v21, v7
	v_add_f32_e32 v6, v20, v6
	v_fmamk_f32 v20, v75, 0xbeb58ec6, v53
	v_add_f32_e32 v4, v28, v4
	v_mul_f32_e32 v28, 0xbe750f2a, v148
	v_add_f32_e32 v5, v1, v5
	v_fmamk_f32 v21, v74, 0x3e750f2a, v52
	v_add_f32_e32 v6, v20, v6
	v_fmamk_f32 v20, v76, 0xbf3f9e67, v29
	v_add_f32_e32 v4, v30, v4
	v_add_f32_e32 v3, v3, v5
	v_fma_f32 v5, 0xbf788fa5, v71, -v134
	v_fmac_f32_e32 v116, 0x3eedf032, v67
	v_add_f32_e32 v6, v20, v6
	v_fmamk_f32 v20, v77, 0xbf788fa5, v28
	v_add_f32_e32 v4, v0, v4
	v_add_f32_e32 v5, v56, v5
	v_fmac_f32_e32 v146, 0xbf29c268, v70
	v_add_f32_e32 v1, v21, v7
	v_add_f32_e32 v0, v20, v6
	;; [unrolled: 1-line block ×4, first 2 shown]
	v_fma_f32 v6, 0x3f62ad3f, v72, -v136
	v_fmac_f32_e32 v131, 0xbf29c268, v68
	v_add_f32_e32 v7, v57, v146
	v_fmac_f32_e32 v147, 0x3f7e222b, v67
	v_add_f32_e32 v4, v116, v4
	v_add_f32_e32 v5, v6, v5
	v_fma_f32 v6, 0xbf3f9e67, v73, -v139
	v_fmac_f32_e32 v133, 0x3f52af12, v66
	v_add_f32_e32 v7, v147, v7
	v_add_f32_e32 v4, v131, v4
	v_fmac_f32_e32 v149, 0xbf52af12, v68
	v_add_f32_e32 v5, v6, v5
	v_fma_f32 v6, 0x3f116cb1, v75, -v142
	v_fmac_f32_e32 v138, 0xbf6f5d39, v69
	v_add_f32_e32 v4, v133, v4
	v_add_f32_e32 v7, v149, v7
	v_fmac_f32_e32 v152, 0x3e750f2a, v66
	v_add_f32_e32 v5, v6, v5
	v_fma_f32 v6, 0xbeb58ec6, v76, -v145
	v_add_f32_e32 v4, v138, v4
	v_fmac_f32_e32 v143, 0x3f7e222b, v74
	v_fma_f32 v20, 0x3df6dbef, v77, -v150
	v_add_f32_e32 v7, v152, v7
	v_add_f32_e32 v6, v6, v5
	v_fmac_f32_e32 v154, 0x3eedf032, v69
	v_fma_f32 v21, 0xbf3f9e67, v71, -v151
	v_add_f32_e32 v5, v143, v4
	v_fmac_f32_e32 v158, 0xbf6f5d39, v70
	v_add_f32_e32 v4, v20, v6
	v_add_f32_e32 v6, v154, v7
	v_fmac_f32_e32 v157, 0xbf6f5d39, v74
	v_add_f32_e32 v20, v56, v21
	v_fma_f32 v21, 0x3df6dbef, v72, -v153
	v_add_f32_e32 v22, v57, v158
	v_fmac_f32_e32 v160, 0x3f29c268, v67
	v_add_f32_e32 v7, v157, v6
	v_fma_f32 v6, 0xbeb58ec6, v71, -v163
	v_add_f32_e32 v20, v21, v20
	v_fma_f32 v21, 0x3f116cb1, v73, -v155
	v_add_f32_e32 v22, v160, v22
	v_fmac_f32_e32 v161, 0x3eedf032, v68
	v_add_f32_e32 v6, v56, v6
	v_fma_f32 v23, 0xbf3f9e67, v72, -v165
	;; [unrolled: 6-line block ×6, first 2 shown]
	v_add_f32_e32 v20, v56, v20
	v_fmac_f32_e32 v187, 0xbf6f5d39, v67
	v_add_f32_e32 v54, v57, v184
	v_fmac_f32_e32 v186, 0xbe750f2a, v68
	v_fmac_f32_e32 v190, 0x3f29c268, v66
	v_add_f32_e32 v20, v30, v20
	v_fma_f32 v30, 0xbeb58ec6, v73, -v182
	v_add_f32_e32 v54, v187, v54
	v_fma_f32 v31, 0x3f116cb1, v77, -v175
	v_fma_f32 v55, 0xbf3f9e67, v77, -v188
	v_fmac_f32_e32 v194, 0x3f7e222b, v69
	v_add_f32_e32 v20, v30, v20
	v_fma_f32 v30, 0x3f62ad3f, v75, -v181
	v_add_f32_e32 v54, v186, v54
	v_mul_f32_e32 v196, 0xbe750f2a, v137
	v_fmac_f32_e32 v170, 0xbf7e222b, v70
	v_fmac_f32_e32 v197, 0xbeedf032, v70
	v_add_f32_e32 v20, v30, v20
	v_fma_f32 v30, 0x3f116cb1, v76, -v178
	v_add_f32_e32 v54, v190, v54
	v_fmamk_f32 v191, v73, 0xbf788fa5, v196
	v_mul_f32_e32 v192, 0x3f29c268, v140
	v_add_f32_e32 v23, v57, v170
	v_add_f32_e32 v30, v30, v20
	;; [unrolled: 1-line block ×4, first 2 shown]
	v_fma_f32 v54, 0x3f62ad3f, v71, -v132
	v_fmac_f32_e32 v173, 0xbe750f2a, v67
	v_add_f32_e32 v22, v55, v30
	v_fma_f32 v30, 0x3f116cb1, v71, -v189
	v_fma_f32 v55, 0xbeb58ec6, v72, -v193
	v_add_f32_e32 v57, v57, v197
	v_fmac_f32_e32 v200, 0xbf52af12, v67
	v_add_f32_e32 v54, v56, v54
	v_add_f32_e32 v30, v56, v30
	v_fma_f32 v56, 0x3f116cb1, v72, -v59
	v_add_f32_e32 v80, v191, v177
	v_fmamk_f32 v177, v75, 0xbf3f9e67, v192
	v_mul_f32_e32 v191, 0x3f7e222b, v144
	v_add_f32_e32 v23, v173, v23
	v_fmac_f32_e32 v174, 0x3f6f5d39, v68
	v_add_f32_e32 v30, v55, v30
	v_fma_f32 v55, 0xbf788fa5, v73, -v196
	v_add_f32_e32 v57, v200, v57
	v_fmac_f32_e32 v82, 0xbf7e222b, v68
	v_add_f32_e32 v54, v56, v54
	v_fma_f32 v56, 0x3df6dbef, v73, -v58
	v_add_f32_e32 v80, v177, v80
	v_fmamk_f32 v177, v76, 0x3df6dbef, v191
	v_add_f32_e32 v23, v174, v23
	v_fmac_f32_e32 v172, 0x3eedf032, v66
	v_add_f32_e32 v30, v55, v30
	v_fma_f32 v55, 0xbf3f9e67, v75, -v192
	v_add_f32_e32 v57, v82, v57
	v_fmac_f32_e32 v115, 0xbf6f5d39, v66
	v_add_f32_e32 v54, v56, v54
	v_fma_f32 v53, 0xbeb58ec6, v75, -v53
	v_add_f32_e32 v80, v177, v80
	v_mul_f32_e32 v177, 0x3eedf032, v148
	v_add_f32_e32 v23, v172, v23
	v_fmac_f32_e32 v180, 0xbf52af12, v69
	v_add_f32_e32 v30, v55, v30
	v_fma_f32 v55, 0x3df6dbef, v76, -v191
	v_add_f32_e32 v56, v115, v57
	v_fmac_f32_e32 v129, 0xbf29c268, v69
	v_add_f32_e32 v53, v53, v54
	v_fma_f32 v29, 0xbf3f9e67, v76, -v29
	v_fmamk_f32 v199, v77, 0x3f62ad3f, v177
	v_add_f32_e32 v3, v114, v3
	v_add_f32_e32 v2, v113, v2
	v_add_f32_e32 v23, v180, v23
	v_fmac_f32_e32 v183, 0xbf29c268, v74
	v_fmac_f32_e32 v195, 0x3eedf032, v74
	v_add_f32_e32 v30, v55, v30
	v_fma_f32 v54, 0x3f62ad3f, v77, -v177
	v_add_f32_e32 v55, v129, v56
	v_fmac_f32_e32 v52, 0xbe750f2a, v74
	v_add_f32_e32 v53, v29, v53
	v_fma_f32 v56, 0xbf788fa5, v77, -v28
	v_lshl_add_u32 v57, v127, 3, v125
	v_add_f32_e32 v80, v199, v80
	v_add_f32_e32 v23, v183, v23
	;; [unrolled: 1-line block ×6, first 2 shown]
	ds_write2_b64 v57, v[2:3], v[0:1] offset1:1
	ds_write2_b64 v57, v[80:81], v[78:79] offset0:2 offset1:3
	ds_write2_b64 v57, v[64:65], v[62:63] offset0:4 offset1:5
	;; [unrolled: 1-line block ×5, first 2 shown]
	ds_write_b64 v57, v[30:31] offset:96
.LBB0_13:
	s_or_b32 exec_lo, exec_lo, s0
	s_waitcnt lgkmcnt(0)
	s_barrier
	buffer_gl0_inv
	ds_read2_b64 v[0:3], v117 offset0:26 offset1:39
	ds_read2_b64 v[4:7], v117 offset0:78 offset1:91
	;; [unrolled: 1-line block ×5, first 2 shown]
	ds_read2_b64 v[56:59], v117 offset1:13
	ds_read2_b64 v[60:63], v117 offset0:130 offset1:143
	ds_read_b64 v[64:65], v117 offset:1456
	s_waitcnt lgkmcnt(0)
	s_barrier
	buffer_gl0_inv
	s_mov_b32 s2, 0x15015015
	s_mov_b32 s3, 0x3f750150
	s_mul_hi_u32 s1, s8, 0x78
	s_mul_i32 s4, s8, 0x78
	v_mul_f32_e32 v66, v17, v3
	v_mul_f32_e32 v67, v17, v2
	;; [unrolled: 1-line block ×9, first 2 shown]
	v_fmac_f32_e32 v66, v16, v2
	v_fma_f32 v67, v16, v3, -v67
	v_fmac_f32_e32 v70, v8, v22
	v_fma_f32 v22, v8, v23, -v71
	v_fma_f32 v23, v10, v29, -v73
	v_mul_f32_e32 v2, v19, v6
	v_mul_f32_e32 v3, v9, v60
	;; [unrolled: 1-line block ×4, first 2 shown]
	v_fmac_f32_e32 v68, v18, v4
	v_fmac_f32_e32 v72, v10, v28
	;; [unrolled: 1-line block ×3, first 2 shown]
	v_fma_f32 v28, v16, v53, -v17
	v_fma_f32 v52, v18, v7, -v2
	;; [unrolled: 1-line block ×3, first 2 shown]
	v_fmac_f32_e32 v29, v10, v30
	v_mul_f32_e32 v2, v11, v30
	v_mul_f32_e32 v30, v25, v55
	;; [unrolled: 1-line block ×5, first 2 shown]
	v_fma_f32 v27, v10, v31, -v2
	v_fmac_f32_e32 v30, v24, v54
	v_fma_f32 v31, v24, v55, -v3
	v_fma_f32 v54, v26, v21, -v4
	v_mul_f32_e32 v3, v13, v62
	v_add_f32_e32 v4, v56, v66
	v_mul_f32_e32 v17, v19, v7
	v_mul_f32_e32 v19, v9, v61
	v_add_f32_e32 v2, v68, v70
	v_fma_f32 v61, v12, v63, -v3
	v_add_f32_e32 v3, v4, v68
	v_fma_f32 v69, v18, v5, -v69
	v_fmac_f32_e32 v17, v18, v6
	v_fmac_f32_e32 v19, v8, v60
	v_mul_f32_e32 v55, v13, v63
	v_fma_f32 v2, -0.5, v2, v56
	v_sub_f32_e32 v5, v67, v23
	v_sub_f32_e32 v6, v66, v68
	;; [unrolled: 1-line block ×3, first 2 shown]
	v_add_f32_e32 v9, v66, v72
	v_add_f32_e32 v3, v3, v70
	v_fmac_f32_e32 v55, v12, v62
	v_fmamk_f32 v4, v5, 0xbf737871, v2
	v_sub_f32_e32 v7, v69, v22
	v_mul_f32_e32 v10, v15, v64
	v_add_f32_e32 v11, v6, v8
	v_fma_f32 v6, -0.5, v9, v56
	v_add_f32_e32 v8, v3, v72
	v_fmac_f32_e32 v2, 0x3f737871, v5
	v_sub_f32_e32 v3, v68, v66
	v_sub_f32_e32 v9, v70, v72
	v_add_f32_e32 v12, v57, v67
	v_add_f32_e32 v13, v69, v22
	v_mul_f32_e32 v60, v15, v65
	v_fmac_f32_e32 v4, 0xbf167918, v7
	v_fma_f32 v56, v14, v65, -v10
	v_fmamk_f32 v10, v7, 0x3f737871, v6
	v_fmac_f32_e32 v2, 0x3f167918, v7
	v_add_f32_e32 v9, v3, v9
	v_fmac_f32_e32 v6, 0xbf737871, v7
	v_add_f32_e32 v7, v12, v69
	v_fma_f32 v3, -0.5, v13, v57
	v_sub_f32_e32 v13, v66, v72
	v_fmac_f32_e32 v60, v14, v64
	v_fmac_f32_e32 v4, 0x3e9e377a, v11
	;; [unrolled: 1-line block ×5, first 2 shown]
	v_add_f32_e32 v11, v7, v22
	v_fmamk_f32 v5, v13, 0x3f737871, v3
	v_add_f32_e32 v7, v67, v23
	v_sub_f32_e32 v14, v68, v70
	v_sub_f32_e32 v12, v67, v69
	;; [unrolled: 1-line block ×3, first 2 shown]
	v_fmac_f32_e32 v3, 0xbf737871, v13
	v_fmac_f32_e32 v25, v26, v20
	v_fma_f32 v7, -0.5, v7, v57
	v_fmac_f32_e32 v5, 0x3f167918, v14
	v_add_f32_e32 v15, v12, v15
	v_sub_f32_e32 v12, v69, v67
	v_sub_f32_e32 v16, v22, v23
	v_add_f32_e32 v18, v17, v19
	v_fmac_f32_e32 v3, 0xbf167918, v14
	v_add_f32_e32 v20, v58, v74
	v_fmac_f32_e32 v10, 0x3e9e377a, v9
	v_fmac_f32_e32 v6, 0x3e9e377a, v9
	v_add_f32_e32 v9, v11, v23
	v_fmamk_f32 v11, v14, 0xbf737871, v7
	v_fmac_f32_e32 v5, 0x3e9e377a, v15
	v_add_f32_e32 v16, v12, v16
	v_fma_f32 v12, -0.5, v18, v58
	v_sub_f32_e32 v21, v28, v27
	v_fmac_f32_e32 v3, 0x3e9e377a, v15
	v_fmac_f32_e32 v7, 0x3f737871, v14
	v_add_f32_e32 v15, v20, v17
	v_add_f32_e32 v23, v74, v29
	v_fmac_f32_e32 v11, 0x3f167918, v13
	v_fmamk_f32 v14, v21, 0xbf737871, v12
	v_sub_f32_e32 v20, v52, v53
	v_sub_f32_e32 v18, v74, v17
	;; [unrolled: 1-line block ×3, first 2 shown]
	v_fmac_f32_e32 v7, 0xbf167918, v13
	v_add_f32_e32 v13, v15, v19
	v_fma_f32 v58, -0.5, v23, v58
	v_fmac_f32_e32 v12, 0x3f737871, v21
	v_add_f32_e32 v23, v59, v28
	v_fmac_f32_e32 v11, 0x3e9e377a, v16
	v_fmac_f32_e32 v14, 0xbf167918, v20
	v_add_f32_e32 v15, v18, v22
	v_fmac_f32_e32 v7, 0x3e9e377a, v16
	v_add_f32_e32 v16, v13, v29
	v_fmamk_f32 v18, v20, 0x3f737871, v58
	v_sub_f32_e32 v13, v17, v74
	v_sub_f32_e32 v22, v19, v29
	v_fmac_f32_e32 v12, 0x3f167918, v20
	v_add_f32_e32 v24, v52, v53
	v_fmac_f32_e32 v58, 0xbf737871, v20
	v_add_f32_e32 v20, v23, v52
	;; [unrolled: 2-line block ×3, first 2 shown]
	v_fma_f32 v13, -0.5, v24, v59
	v_sub_f32_e32 v23, v74, v29
	v_fmac_f32_e32 v58, 0x3f167918, v21
	v_add_f32_e32 v20, v20, v53
	v_add_f32_e32 v21, v28, v27
	v_sub_f32_e32 v24, v17, v19
	v_sub_f32_e32 v19, v28, v52
	;; [unrolled: 1-line block ×3, first 2 shown]
	v_fmac_f32_e32 v14, 0x3e9e377a, v15
	v_fmac_f32_e32 v12, 0x3e9e377a, v15
	;; [unrolled: 1-line block ×3, first 2 shown]
	v_fmamk_f32 v15, v23, 0x3f737871, v13
	v_fmac_f32_e32 v58, 0x3e9e377a, v22
	v_fmac_f32_e32 v59, -0.5, v21
	v_add_f32_e32 v17, v20, v27
	v_add_f32_e32 v21, v19, v26
	v_fmac_f32_e32 v13, 0xbf737871, v23
	v_sub_f32_e32 v20, v52, v28
	v_sub_f32_e32 v22, v53, v27
	v_add_f32_e32 v26, v25, v55
	v_fmac_f32_e32 v15, 0x3f167918, v24
	v_fmamk_f32 v19, v24, 0xbf737871, v59
	v_fmac_f32_e32 v13, 0xbf167918, v24
	v_add_f32_e32 v27, v20, v22
	v_fmac_f32_e32 v59, 0x3f737871, v24
	v_add_f32_e32 v22, v0, v30
	v_fma_f32 v20, -0.5, v26, v0
	v_sub_f32_e32 v28, v31, v56
	v_fmac_f32_e32 v15, 0x3e9e377a, v21
	v_fmac_f32_e32 v19, 0x3f167918, v23
	;; [unrolled: 1-line block ×4, first 2 shown]
	v_add_f32_e32 v21, v22, v25
	v_fmamk_f32 v22, v28, 0xbf737871, v20
	v_sub_f32_e32 v23, v54, v61
	v_sub_f32_e32 v24, v30, v25
	;; [unrolled: 1-line block ×3, first 2 shown]
	v_fmac_f32_e32 v20, 0x3f737871, v28
	v_add_f32_e32 v29, v30, v60
	v_fmac_f32_e32 v19, 0x3e9e377a, v27
	v_add_f32_e32 v21, v21, v55
	;; [unrolled: 2-line block ×3, first 2 shown]
	v_fmac_f32_e32 v20, 0x3f167918, v23
	v_fma_f32 v0, -0.5, v29, v0
	v_fmac_f32_e32 v59, 0x3e9e377a, v27
	v_sub_f32_e32 v27, v25, v30
	v_sub_f32_e32 v29, v55, v60
	v_add_f32_e32 v24, v21, v60
	v_fmac_f32_e32 v22, 0x3e9e377a, v26
	v_fmac_f32_e32 v20, 0x3e9e377a, v26
	v_fmamk_f32 v26, v23, 0x3f737871, v0
	v_add_f32_e32 v21, v54, v61
	v_fmac_f32_e32 v0, 0xbf737871, v23
	v_add_f32_e32 v27, v27, v29
	v_add_f32_e32 v29, v31, v56
	;; [unrolled: 1-line block ×3, first 2 shown]
	v_fma_f32 v21, -0.5, v21, v1
	v_sub_f32_e32 v30, v30, v60
	v_fmac_f32_e32 v26, 0xbf167918, v28
	v_fmac_f32_e32 v0, 0x3f167918, v28
	v_sub_f32_e32 v25, v25, v55
	v_fmac_f32_e32 v1, -0.5, v29
	v_add_f32_e32 v28, v23, v54
	v_fmamk_f32 v23, v30, 0x3f737871, v21
	v_fmac_f32_e32 v26, 0x3e9e377a, v27
	v_fmac_f32_e32 v0, 0x3e9e377a, v27
	v_sub_f32_e32 v29, v31, v54
	v_sub_f32_e32 v52, v56, v61
	v_fmac_f32_e32 v21, 0xbf737871, v30
	v_fmamk_f32 v27, v25, 0xbf737871, v1
	v_sub_f32_e32 v31, v54, v31
	v_sub_f32_e32 v53, v61, v56
	v_fmac_f32_e32 v1, 0x3f737871, v25
	v_fmac_f32_e32 v23, 0x3f167918, v25
	v_add_f32_e32 v29, v29, v52
	v_fmac_f32_e32 v21, 0xbf167918, v25
	v_add_f32_e32 v31, v31, v53
	;; [unrolled: 2-line block ×3, first 2 shown]
	v_fmac_f32_e32 v27, 0x3f167918, v30
	v_fmac_f32_e32 v23, 0x3e9e377a, v29
	;; [unrolled: 1-line block ×4, first 2 shown]
	v_add_f32_e32 v25, v28, v56
	v_fmac_f32_e32 v27, 0x3e9e377a, v31
	ds_write2_b64 v117, v[8:9], v[4:5] offset1:13
	ds_write2_b64 v117, v[10:11], v[6:7] offset0:26 offset1:39
	ds_write2_b64 v117, v[2:3], v[16:17] offset0:52 offset1:65
	;; [unrolled: 1-line block ×6, first 2 shown]
	ds_write_b64 v128, v[20:21] offset:1456
	s_waitcnt lgkmcnt(0)
	s_barrier
	buffer_gl0_inv
	ds_read2_b64 v[0:3], v117 offset0:52 offset1:65
	ds_read2_b64 v[4:7], v117 offset0:130 offset1:143
	;; [unrolled: 1-line block ×3, first 2 shown]
	ds_read2_b64 v[12:15], v117 offset1:13
	ds_read2_b64 v[16:19], v117 offset0:26 offset1:39
	ds_read2_b64 v[20:23], v117 offset0:156 offset1:169
	;; [unrolled: 1-line block ×3, first 2 shown]
	ds_read_b64 v[28:29], v117 offset:1456
	s_waitcnt lgkmcnt(7)
	v_mul_f32_e32 v30, v49, v3
	v_mul_f32_e32 v31, v49, v2
	s_waitcnt lgkmcnt(6)
	v_mul_f32_e32 v49, v51, v5
	v_fmac_f32_e32 v30, v48, v2
	v_mul_f32_e32 v2, v51, v4
	v_fma_f32 v3, v48, v3, -v31
	s_waitcnt lgkmcnt(5)
	v_mul_f32_e32 v31, v45, v9
	v_fmac_f32_e32 v49, v50, v4
	v_mul_f32_e32 v4, v45, v8
	v_fma_f32 v5, v50, v5, -v2
	v_mul_f32_e32 v45, v47, v7
	v_fmac_f32_e32 v31, v44, v8
	v_mul_f32_e32 v2, v47, v6
	v_fma_f32 v9, v44, v9, -v4
	v_mul_f32_e32 v44, v41, v11
	v_mul_f32_e32 v4, v41, v10
	v_fmac_f32_e32 v45, v46, v6
	v_fma_f32 v41, v46, v7, -v2
	s_waitcnt lgkmcnt(2)
	v_mul_f32_e32 v46, v43, v21
	v_fmac_f32_e32 v44, v40, v10
	v_mul_f32_e32 v2, v43, v20
	v_fma_f32 v40, v40, v11, -v4
	s_waitcnt lgkmcnt(1)
	v_mul_f32_e32 v43, v37, v25
	v_mul_f32_e32 v4, v37, v24
	;; [unrolled: 1-line block ×3, first 2 shown]
	v_fma_f32 v21, v42, v21, -v2
	v_mul_f32_e32 v2, v39, v22
	v_fmac_f32_e32 v43, v36, v24
	v_fma_f32 v24, v36, v25, -v4
	v_mul_f32_e32 v36, v33, v27
	v_mul_f32_e32 v4, v33, v26
	v_fma_f32 v23, v38, v23, -v2
	s_waitcnt lgkmcnt(0)
	v_mul_f32_e32 v2, v35, v28
	v_add_f32_e32 v7, v3, v5
	v_fmac_f32_e32 v36, v32, v26
	v_fma_f32 v26, v32, v27, -v4
	v_add_f32_e32 v4, v30, v49
	v_add_f32_e32 v6, v12, v30
	v_fma_f32 v27, v34, v29, -v2
	v_sub_f32_e32 v8, v3, v5
	v_add_f32_e32 v10, v13, v3
	v_fma_f32 v2, -0.5, v4, v12
	v_fma_f32 v3, -0.5, v7, v13
	v_sub_f32_e32 v11, v30, v49
	v_add_f32_e32 v4, v6, v49
	v_fmac_f32_e32 v46, v42, v20
	v_fmamk_f32 v6, v8, 0xbf5db3d7, v2
	v_fmac_f32_e32 v2, 0x3f5db3d7, v8
	v_add_f32_e32 v8, v31, v45
	v_fmamk_f32 v7, v11, 0x3f5db3d7, v3
	v_fmac_f32_e32 v3, 0xbf5db3d7, v11
	v_add_f32_e32 v11, v9, v41
	v_add_f32_e32 v5, v10, v5
	;; [unrolled: 1-line block ×3, first 2 shown]
	v_fma_f32 v14, -0.5, v8, v14
	v_sub_f32_e32 v12, v9, v41
	v_add_f32_e32 v9, v15, v9
	v_fmac_f32_e32 v15, -0.5, v11
	v_sub_f32_e32 v13, v31, v45
	v_mul_f32_e32 v33, v35, v29
	v_add_f32_e32 v8, v10, v45
	v_fmamk_f32 v10, v12, 0xbf5db3d7, v14
	v_fmac_f32_e32 v14, 0x3f5db3d7, v12
	v_add_f32_e32 v12, v44, v46
	v_fmamk_f32 v11, v13, 0x3f5db3d7, v15
	v_fmac_f32_e32 v15, 0xbf5db3d7, v13
	v_add_f32_e32 v13, v40, v21
	v_fmac_f32_e32 v37, v38, v22
	v_fmac_f32_e32 v33, v34, v28
	v_add_f32_e32 v20, v16, v44
	v_fma_f32 v12, -0.5, v12, v16
	v_sub_f32_e32 v22, v40, v21
	v_add_f32_e32 v25, v17, v40
	v_fma_f32 v13, -0.5, v13, v17
	v_sub_f32_e32 v28, v44, v46
	v_add_f32_e32 v16, v20, v46
	v_fmamk_f32 v20, v22, 0xbf5db3d7, v12
	v_fmac_f32_e32 v12, 0x3f5db3d7, v22
	v_add_f32_e32 v17, v25, v21
	v_add_f32_e32 v22, v43, v37
	v_fmamk_f32 v21, v28, 0x3f5db3d7, v13
	v_add_f32_e32 v25, v18, v43
	v_fmac_f32_e32 v13, 0xbf5db3d7, v28
	v_add_f32_e32 v28, v24, v23
	v_fma_f32 v18, -0.5, v22, v18
	v_sub_f32_e32 v29, v24, v23
	v_add_f32_e32 v22, v25, v37
	v_add_f32_e32 v25, v19, v24
	v_fmac_f32_e32 v19, -0.5, v28
	v_sub_f32_e32 v28, v43, v37
	v_fmamk_f32 v24, v29, 0xbf5db3d7, v18
	v_fmac_f32_e32 v18, 0x3f5db3d7, v29
	v_add_f32_e32 v23, v25, v23
	v_add_f32_e32 v29, v36, v33
	v_fmamk_f32 v25, v28, 0x3f5db3d7, v19
	v_fmac_f32_e32 v19, 0xbf5db3d7, v28
	v_add_f32_e32 v28, v26, v27
	v_add_f32_e32 v30, v0, v36
	v_fma_f32 v0, -0.5, v29, v0
	v_sub_f32_e32 v29, v26, v27
	v_add_f32_e32 v31, v1, v26
	v_fmac_f32_e32 v1, -0.5, v28
	v_sub_f32_e32 v32, v36, v33
	v_add_f32_e32 v9, v9, v41
	v_fmamk_f32 v28, v29, 0xbf5db3d7, v0
	v_fmac_f32_e32 v0, 0x3f5db3d7, v29
	v_add_f32_e32 v26, v30, v33
	v_fmamk_f32 v29, v32, 0x3f5db3d7, v1
	v_fmac_f32_e32 v1, 0xbf5db3d7, v32
	v_add_f32_e32 v27, v31, v27
	ds_write_b64 v117, v[4:5]
	ds_write2_b64 v126, v[6:7], v[10:11] offset0:65 offset1:78
	ds_write2_b64 v126, v[2:3], v[14:15] offset0:130 offset1:143
	;; [unrolled: 1-line block ×7, first 2 shown]
	s_waitcnt lgkmcnt(0)
	s_barrier
	buffer_gl0_inv
	ds_read2_b64 v[0:3], v117 offset1:15
	v_mad_u64_u32 v[12:13], null, s10, v98, 0
	v_mad_u64_u32 v[16:17], null, s8, v124, 0
	v_mov_b32_e32 v10, v13
	s_waitcnt lgkmcnt(0)
	v_mul_f32_e32 v5, v112, v0
	v_mul_f32_e32 v4, v112, v1
	;; [unrolled: 1-line block ×4, first 2 shown]
	v_fma_f32 v5, v111, v1, -v5
	v_fmac_f32_e32 v4, v111, v0
	v_fma_f32 v3, v107, v3, -v13
	v_cvt_f64_f32_e32 v[8:9], v5
	v_cvt_f64_f32_e32 v[0:1], v4
	ds_read2_b64 v[4:7], v117 offset0:30 offset1:45
	v_cvt_f64_f32_e32 v[20:21], v3
	s_waitcnt lgkmcnt(0)
	v_mul_f32_e32 v22, v110, v5
	v_mul_f64 v[14:15], v[8:9], s[2:3]
	v_mad_u64_u32 v[8:9], null, s11, v98, v[10:11]
	v_mul_f32_e32 v9, v110, v4
	v_fmac_f32_e32 v11, v107, v2
	v_fmac_f32_e32 v22, v109, v4
	v_mul_f64 v[0:1], v[0:1], s[2:3]
	v_mov_b32_e32 v2, v17
	v_fma_f32 v9, v109, v5, -v9
	v_cvt_f64_f32_e32 v[18:19], v11
	v_cvt_f64_f32_e32 v[4:5], v22
	v_mov_b32_e32 v13, v8
	v_mad_u64_u32 v[2:3], null, s9, v124, v[2:3]
	v_cvt_f64_f32_e32 v[22:23], v9
	ds_read2_b64 v[8:11], v117 offset0:60 offset1:75
	v_mul_f32_e32 v24, v104, v7
	v_mul_f32_e32 v25, v104, v6
	v_lshlrev_b64 v[12:13], 3, v[12:13]
	v_mov_b32_e32 v17, v2
	v_fmac_f32_e32 v24, v103, v6
	v_add_co_u32 v2, s0, s6, v12
	v_add_co_ci_u32_e64 v3, s0, s7, v13, s0
	v_cvt_f32_f64_e32 v0, v[0:1]
	v_cvt_f32_f64_e32 v1, v[14:15]
	v_lshlrev_b64 v[12:13], 3, v[16:17]
	v_mul_f64 v[14:15], v[18:19], s[2:3]
	v_mul_f64 v[18:19], v[4:5], s[2:3]
	v_fma_f32 v4, v103, v7, -v25
	v_mul_f64 v[16:17], v[20:21], s[2:3]
	s_waitcnt lgkmcnt(0)
	v_mul_f32_e32 v6, v106, v8
	v_mul_f32_e32 v5, v106, v9
	v_mul_f64 v[20:21], v[22:23], s[2:3]
	v_cvt_f64_f32_e32 v[22:23], v24
	v_cvt_f64_f32_e32 v[24:25], v4
	v_fma_f32 v4, v105, v9, -v6
	v_fmac_f32_e32 v5, v105, v8
	v_add_co_u32 v8, s0, v2, v12
	v_add_co_ci_u32_e64 v9, s0, v3, v13, s0
	v_cvt_f64_f32_e32 v[26:27], v4
	v_cvt_f64_f32_e32 v[12:13], v5
	ds_read2_b64 v[4:7], v117 offset0:90 offset1:105
	s_mul_i32 s0, s9, 0x78
	global_store_dwordx2 v[8:9], v[0:1], off
	s_add_i32 s1, s1, s0
	v_cvt_f32_f64_e32 v0, v[14:15]
	v_cvt_f32_f64_e32 v14, v[18:19]
	v_add_co_u32 v8, s0, v8, s4
	v_cvt_f32_f64_e32 v1, v[16:17]
	v_add_co_ci_u32_e64 v9, s0, s1, v9, s0
	v_cvt_f32_f64_e32 v15, v[20:21]
	v_mul_f64 v[18:19], v[24:25], s[2:3]
	v_mul_f32_e32 v24, v100, v11
	v_mul_f64 v[16:17], v[22:23], s[2:3]
	v_add_co_u32 v22, s0, v8, s4
	v_add_co_ci_u32_e64 v23, s0, s1, v9, s0
	v_mul_f64 v[20:21], v[26:27], s[2:3]
	v_fmac_f32_e32 v24, v99, v10
	v_mul_f32_e32 v10, v100, v10
	s_waitcnt lgkmcnt(0)
	v_mul_f32_e32 v26, v102, v5
	v_mul_f32_e32 v27, v102, v4
	v_mul_f64 v[12:13], v[12:13], s[2:3]
	v_mul_f32_e32 v28, v93, v7
	v_fma_f32 v10, v99, v11, -v10
	v_fmac_f32_e32 v26, v101, v4
	v_fma_f32 v11, v101, v5, -v27
	v_mul_f32_e32 v29, v93, v6
	global_store_dwordx2 v[8:9], v[0:1], off
	v_cvt_f64_f32_e32 v[0:1], v10
	v_cvt_f64_f32_e32 v[4:5], v26
	;; [unrolled: 1-line block ×3, first 2 shown]
	ds_read2_b64 v[8:11], v117 offset0:120 offset1:135
	global_store_dwordx2 v[22:23], v[14:15], off
	v_cvt_f32_f64_e32 v16, v[16:17]
	v_cvt_f32_f64_e32 v17, v[18:19]
	v_add_co_u32 v18, s0, v22, s4
	v_fmac_f32_e32 v28, v92, v6
	v_fma_f32 v30, v92, v7, -v29
	v_cvt_f64_f32_e32 v[24:25], v24
	v_add_co_ci_u32_e64 v19, s0, s1, v23, s0
	v_cvt_f32_f64_e32 v23, v[20:21]
	v_cvt_f32_f64_e32 v22, v[12:13]
	ds_read2_b64 v[12:15], v117 offset0:150 offset1:165
	v_cvt_f64_f32_e32 v[30:31], v30
	v_add_co_u32 v20, s0, v18, s4
	v_add_co_ci_u32_e64 v21, s0, s1, v19, s0
	v_mul_f64 v[0:1], v[0:1], s[2:3]
	s_waitcnt lgkmcnt(1)
	v_mul_f32_e32 v32, v87, v9
	v_mul_f64 v[6:7], v[26:27], s[2:3]
	v_cvt_f64_f32_e32 v[26:27], v28
	ds_read_b64 v[28:29], v117 offset:1440
	v_mul_f32_e32 v33, v87, v8
	v_mul_f32_e32 v34, v91, v11
	;; [unrolled: 1-line block ×3, first 2 shown]
	v_fmac_f32_e32 v32, v86, v8
	v_mul_f64 v[4:5], v[4:5], s[2:3]
	v_fma_f32 v33, v86, v9, -v33
	v_fmac_f32_e32 v34, v90, v10
	v_fma_f32 v35, v90, v11, -v35
	v_cvt_f64_f32_e32 v[8:9], v32
	s_waitcnt lgkmcnt(1)
	v_mul_f32_e32 v36, v89, v13
	v_mul_f32_e32 v38, v95, v15
	;; [unrolled: 1-line block ×3, first 2 shown]
	v_cvt_f64_f32_e32 v[10:11], v33
	v_mul_f64 v[24:25], v[24:25], s[2:3]
	v_fmac_f32_e32 v36, v88, v12
	v_mul_f32_e32 v12, v89, v12
	v_fmac_f32_e32 v38, v94, v14
	v_fma_f32 v39, v94, v15, -v39
	v_cvt_f64_f32_e32 v[32:33], v34
	s_waitcnt lgkmcnt(0)
	v_mul_f32_e32 v40, v97, v29
	v_mul_f32_e32 v41, v97, v28
	v_fma_f32 v12, v88, v13, -v12
	v_cvt_f64_f32_e32 v[34:35], v35
	v_cvt_f64_f32_e32 v[36:37], v36
	v_fmac_f32_e32 v40, v96, v28
	v_fma_f32 v41, v96, v29, -v41
	v_cvt_f64_f32_e32 v[12:13], v12
	v_cvt_f64_f32_e32 v[14:15], v38
	;; [unrolled: 1-line block ×5, first 2 shown]
	global_store_dwordx2 v[18:19], v[16:17], off
	global_store_dwordx2 v[20:21], v[22:23], off
	v_cvt_f32_f64_e32 v17, v[0:1]
	v_mul_f64 v[0:1], v[26:27], s[2:3]
	v_mul_f64 v[18:19], v[30:31], s[2:3]
	v_mul_f64 v[8:9], v[8:9], s[2:3]
	v_mul_f64 v[10:11], v[10:11], s[2:3]
	v_cvt_f32_f64_e32 v16, v[24:25]
	v_cvt_f32_f64_e32 v4, v[4:5]
	;; [unrolled: 1-line block ×3, first 2 shown]
	v_mul_f64 v[6:7], v[32:33], s[2:3]
	v_add_co_u32 v20, s0, v20, s4
	v_add_co_ci_u32_e64 v21, s0, s1, v21, s0
	v_mul_f64 v[22:23], v[34:35], s[2:3]
	v_mul_f64 v[24:25], v[36:37], s[2:3]
	v_add_co_u32 v32, s0, v20, s4
	v_mul_f64 v[12:13], v[12:13], s[2:3]
	v_mul_f64 v[14:15], v[14:15], s[2:3]
	;; [unrolled: 1-line block ×5, first 2 shown]
	v_add_co_ci_u32_e64 v33, s0, s1, v21, s0
	v_cvt_f32_f64_e32 v0, v[0:1]
	v_cvt_f32_f64_e32 v1, v[18:19]
	v_add_co_u32 v18, s0, v32, s4
	v_add_co_ci_u32_e64 v19, s0, s1, v33, s0
	v_cvt_f32_f64_e32 v8, v[8:9]
	v_cvt_f32_f64_e32 v9, v[10:11]
	v_add_co_u32 v10, s0, v18, s4
	v_add_co_ci_u32_e64 v11, s0, s1, v19, s0
	v_cvt_f32_f64_e32 v6, v[6:7]
	v_cvt_f32_f64_e32 v7, v[22:23]
	;; [unrolled: 1-line block ×3, first 2 shown]
	v_add_co_u32 v24, s0, v10, s4
	v_cvt_f32_f64_e32 v23, v[12:13]
	v_add_co_ci_u32_e64 v25, s0, s1, v11, s0
	v_cvt_f32_f64_e32 v12, v[14:15]
	v_cvt_f32_f64_e32 v13, v[26:27]
	v_cvt_f32_f64_e32 v14, v[28:29]
	v_cvt_f32_f64_e32 v15, v[30:31]
	global_store_dwordx2 v[20:21], v[16:17], off
	v_add_co_u32 v16, s0, v24, s4
	v_add_co_ci_u32_e64 v17, s0, s1, v25, s0
	global_store_dwordx2 v[32:33], v[4:5], off
	v_add_co_u32 v4, s0, v16, s4
	v_add_co_ci_u32_e64 v5, s0, s1, v17, s0
	;; [unrolled: 3-line block ×3, first 2 shown]
	global_store_dwordx2 v[10:11], v[8:9], off
	global_store_dwordx2 v[24:25], v[6:7], off
	;; [unrolled: 1-line block ×5, first 2 shown]
	s_and_b32 exec_lo, exec_lo, vcc_lo
	s_cbranch_execz .LBB0_15
; %bb.14:
	global_load_dwordx2 v[4:5], v[84:85], off offset:104
	ds_read_b64 v[6:7], v126 offset:104
	v_mad_u64_u32 v[0:1], null, 0xfffffac8, s8, v[0:1]
	s_mul_i32 s0, s9, 0xfffffac8
	s_mul_hi_u32 s4, s8, 0xf0
	s_sub_i32 s0, s0, s8
	s_mul_i32 s1, s8, 0xf0
	v_add_nc_u32_e32 v1, s0, v1
	s_mul_i32 s0, s9, 0xf0
	s_add_i32 s0, s4, s0
	s_waitcnt vmcnt(0) lgkmcnt(0)
	v_mul_f32_e32 v8, v7, v5
	v_mul_f32_e32 v5, v6, v5
	v_fmac_f32_e32 v8, v6, v4
	v_fma_f32 v6, v4, v7, -v5
	v_cvt_f64_f32_e32 v[4:5], v8
	v_cvt_f64_f32_e32 v[6:7], v6
	v_mul_f64 v[4:5], v[4:5], s[2:3]
	v_mul_f64 v[6:7], v[6:7], s[2:3]
	v_cvt_f32_f64_e32 v4, v[4:5]
	v_cvt_f32_f64_e32 v5, v[6:7]
	global_store_dwordx2 v[0:1], v[4:5], off
	global_load_dwordx2 v[8:9], v[84:85], off offset:224
	ds_read2_b64 v[4:7], v117 offset0:28 offset1:43
	s_waitcnt vmcnt(0) lgkmcnt(0)
	v_mul_f32_e32 v10, v5, v9
	v_mul_f32_e32 v9, v4, v9
	v_fmac_f32_e32 v10, v4, v8
	v_fma_f32 v8, v8, v5, -v9
	v_cvt_f64_f32_e32 v[4:5], v10
	v_cvt_f64_f32_e32 v[8:9], v8
	v_mad_u64_u32 v[10:11], null, s8, v123, 0
	v_mad_u64_u32 v[11:12], null, s9, v123, v[11:12]
	v_mul_f64 v[4:5], v[4:5], s[2:3]
	v_mul_f64 v[8:9], v[8:9], s[2:3]
	v_cvt_f32_f64_e32 v4, v[4:5]
	v_cvt_f32_f64_e32 v5, v[8:9]
	v_lshlrev_b64 v[8:9], 3, v[10:11]
	v_add_co_u32 v8, vcc_lo, v2, v8
	v_add_co_ci_u32_e32 v9, vcc_lo, v3, v9, vcc_lo
	v_add_co_u32 v0, vcc_lo, v0, s1
	v_add_co_ci_u32_e32 v1, vcc_lo, s0, v1, vcc_lo
	global_store_dwordx2 v[8:9], v[4:5], off
	global_load_dwordx2 v[4:5], v[84:85], off offset:344
	s_waitcnt vmcnt(0)
	v_mul_f32_e32 v8, v7, v5
	v_mul_f32_e32 v5, v6, v5
	v_fmac_f32_e32 v8, v6, v4
	v_fma_f32 v6, v4, v7, -v5
	v_cvt_f64_f32_e32 v[4:5], v8
	v_cvt_f64_f32_e32 v[6:7], v6
	v_mul_f64 v[4:5], v[4:5], s[2:3]
	v_mul_f64 v[6:7], v[6:7], s[2:3]
	v_cvt_f32_f64_e32 v4, v[4:5]
	v_cvt_f32_f64_e32 v5, v[6:7]
	global_store_dwordx2 v[0:1], v[4:5], off
	global_load_dwordx2 v[8:9], v[84:85], off offset:464
	ds_read2_b64 v[4:7], v117 offset0:58 offset1:73
	s_waitcnt vmcnt(0) lgkmcnt(0)
	v_mul_f32_e32 v10, v5, v9
	v_mul_f32_e32 v9, v4, v9
	v_fmac_f32_e32 v10, v4, v8
	v_fma_f32 v8, v8, v5, -v9
	v_cvt_f64_f32_e32 v[4:5], v10
	v_cvt_f64_f32_e32 v[8:9], v8
	v_mad_u64_u32 v[10:11], null, s8, v122, 0
	v_mad_u64_u32 v[11:12], null, s9, v122, v[11:12]
	v_mul_f64 v[4:5], v[4:5], s[2:3]
	v_mul_f64 v[8:9], v[8:9], s[2:3]
	v_cvt_f32_f64_e32 v4, v[4:5]
	v_cvt_f32_f64_e32 v5, v[8:9]
	v_lshlrev_b64 v[8:9], 3, v[10:11]
	v_add_co_u32 v8, vcc_lo, v2, v8
	v_add_co_ci_u32_e32 v9, vcc_lo, v3, v9, vcc_lo
	v_add_co_u32 v0, vcc_lo, v0, s1
	v_add_co_ci_u32_e32 v1, vcc_lo, s0, v1, vcc_lo
	global_store_dwordx2 v[8:9], v[4:5], off
	global_load_dwordx2 v[4:5], v[84:85], off offset:584
	s_waitcnt vmcnt(0)
	;; [unrolled: 34-line block ×6, first 2 shown]
	v_mul_f32_e32 v4, v7, v3
	v_mul_f32_e32 v3, v6, v3
	v_fmac_f32_e32 v4, v6, v2
	v_fma_f32 v5, v2, v7, -v3
	v_cvt_f64_f32_e32 v[2:3], v4
	v_cvt_f64_f32_e32 v[4:5], v5
	v_mul_f64 v[2:3], v[2:3], s[2:3]
	v_mul_f64 v[4:5], v[4:5], s[2:3]
	v_cvt_f32_f64_e32 v2, v[2:3]
	v_cvt_f32_f64_e32 v3, v[4:5]
	global_store_dwordx2 v[0:1], v[2:3], off
.LBB0_15:
	s_endpgm
	.section	.rodata,"a",@progbits
	.p2align	6, 0x0
	.amdhsa_kernel bluestein_single_back_len195_dim1_sp_op_CI_CI
		.amdhsa_group_segment_fixed_size 6240
		.amdhsa_private_segment_fixed_size 0
		.amdhsa_kernarg_size 104
		.amdhsa_user_sgpr_count 6
		.amdhsa_user_sgpr_private_segment_buffer 1
		.amdhsa_user_sgpr_dispatch_ptr 0
		.amdhsa_user_sgpr_queue_ptr 0
		.amdhsa_user_sgpr_kernarg_segment_ptr 1
		.amdhsa_user_sgpr_dispatch_id 0
		.amdhsa_user_sgpr_flat_scratch_init 0
		.amdhsa_user_sgpr_private_segment_size 0
		.amdhsa_wavefront_size32 1
		.amdhsa_uses_dynamic_stack 0
		.amdhsa_system_sgpr_private_segment_wavefront_offset 0
		.amdhsa_system_sgpr_workgroup_id_x 1
		.amdhsa_system_sgpr_workgroup_id_y 0
		.amdhsa_system_sgpr_workgroup_id_z 0
		.amdhsa_system_sgpr_workgroup_info 0
		.amdhsa_system_vgpr_workitem_id 0
		.amdhsa_next_free_vgpr 201
		.amdhsa_next_free_sgpr 18
		.amdhsa_reserve_vcc 1
		.amdhsa_reserve_flat_scratch 0
		.amdhsa_float_round_mode_32 0
		.amdhsa_float_round_mode_16_64 0
		.amdhsa_float_denorm_mode_32 3
		.amdhsa_float_denorm_mode_16_64 3
		.amdhsa_dx10_clamp 1
		.amdhsa_ieee_mode 1
		.amdhsa_fp16_overflow 0
		.amdhsa_workgroup_processor_mode 1
		.amdhsa_memory_ordered 1
		.amdhsa_forward_progress 0
		.amdhsa_shared_vgpr_count 0
		.amdhsa_exception_fp_ieee_invalid_op 0
		.amdhsa_exception_fp_denorm_src 0
		.amdhsa_exception_fp_ieee_div_zero 0
		.amdhsa_exception_fp_ieee_overflow 0
		.amdhsa_exception_fp_ieee_underflow 0
		.amdhsa_exception_fp_ieee_inexact 0
		.amdhsa_exception_int_div_zero 0
	.end_amdhsa_kernel
	.text
.Lfunc_end0:
	.size	bluestein_single_back_len195_dim1_sp_op_CI_CI, .Lfunc_end0-bluestein_single_back_len195_dim1_sp_op_CI_CI
                                        ; -- End function
	.section	.AMDGPU.csdata,"",@progbits
; Kernel info:
; codeLenInByte = 21820
; NumSgprs: 20
; NumVgprs: 201
; ScratchSize: 0
; MemoryBound: 0
; FloatMode: 240
; IeeeMode: 1
; LDSByteSize: 6240 bytes/workgroup (compile time only)
; SGPRBlocks: 2
; VGPRBlocks: 25
; NumSGPRsForWavesPerEU: 20
; NumVGPRsForWavesPerEU: 201
; Occupancy: 4
; WaveLimiterHint : 1
; COMPUTE_PGM_RSRC2:SCRATCH_EN: 0
; COMPUTE_PGM_RSRC2:USER_SGPR: 6
; COMPUTE_PGM_RSRC2:TRAP_HANDLER: 0
; COMPUTE_PGM_RSRC2:TGID_X_EN: 1
; COMPUTE_PGM_RSRC2:TGID_Y_EN: 0
; COMPUTE_PGM_RSRC2:TGID_Z_EN: 0
; COMPUTE_PGM_RSRC2:TIDIG_COMP_CNT: 0
	.text
	.p2alignl 6, 3214868480
	.fill 48, 4, 3214868480
	.type	__hip_cuid_e1e519191cb286fd,@object ; @__hip_cuid_e1e519191cb286fd
	.section	.bss,"aw",@nobits
	.globl	__hip_cuid_e1e519191cb286fd
__hip_cuid_e1e519191cb286fd:
	.byte	0                               ; 0x0
	.size	__hip_cuid_e1e519191cb286fd, 1

	.ident	"AMD clang version 19.0.0git (https://github.com/RadeonOpenCompute/llvm-project roc-6.4.0 25133 c7fe45cf4b819c5991fe208aaa96edf142730f1d)"
	.section	".note.GNU-stack","",@progbits
	.addrsig
	.addrsig_sym __hip_cuid_e1e519191cb286fd
	.amdgpu_metadata
---
amdhsa.kernels:
  - .args:
      - .actual_access:  read_only
        .address_space:  global
        .offset:         0
        .size:           8
        .value_kind:     global_buffer
      - .actual_access:  read_only
        .address_space:  global
        .offset:         8
        .size:           8
        .value_kind:     global_buffer
      - .actual_access:  read_only
        .address_space:  global
        .offset:         16
        .size:           8
        .value_kind:     global_buffer
      - .actual_access:  read_only
        .address_space:  global
        .offset:         24
        .size:           8
        .value_kind:     global_buffer
      - .actual_access:  read_only
        .address_space:  global
        .offset:         32
        .size:           8
        .value_kind:     global_buffer
      - .offset:         40
        .size:           8
        .value_kind:     by_value
      - .address_space:  global
        .offset:         48
        .size:           8
        .value_kind:     global_buffer
      - .address_space:  global
        .offset:         56
        .size:           8
        .value_kind:     global_buffer
      - .address_space:  global
        .offset:         64
        .size:           8
        .value_kind:     global_buffer
      - .address_space:  global
        .offset:         72
        .size:           8
        .value_kind:     global_buffer
      - .offset:         80
        .size:           4
        .value_kind:     by_value
      - .address_space:  global
        .offset:         88
        .size:           8
        .value_kind:     global_buffer
      - .address_space:  global
        .offset:         96
        .size:           8
        .value_kind:     global_buffer
    .group_segment_fixed_size: 6240
    .kernarg_segment_align: 8
    .kernarg_segment_size: 104
    .language:       OpenCL C
    .language_version:
      - 2
      - 0
    .max_flat_workgroup_size: 52
    .name:           bluestein_single_back_len195_dim1_sp_op_CI_CI
    .private_segment_fixed_size: 0
    .sgpr_count:     20
    .sgpr_spill_count: 0
    .symbol:         bluestein_single_back_len195_dim1_sp_op_CI_CI.kd
    .uniform_work_group_size: 1
    .uses_dynamic_stack: false
    .vgpr_count:     201
    .vgpr_spill_count: 0
    .wavefront_size: 32
    .workgroup_processor_mode: 1
amdhsa.target:   amdgcn-amd-amdhsa--gfx1030
amdhsa.version:
  - 1
  - 2
...

	.end_amdgpu_metadata
